;; amdgpu-corpus repo=ROCm/rocFFT kind=compiled arch=gfx1030 opt=O3
	.text
	.amdgcn_target "amdgcn-amd-amdhsa--gfx1030"
	.amdhsa_code_object_version 6
	.protected	fft_rtc_fwd_len1575_factors_3_3_5_7_5_wgs_63_tpt_63_halfLds_sp_ip_CI_sbrr_dirReg ; -- Begin function fft_rtc_fwd_len1575_factors_3_3_5_7_5_wgs_63_tpt_63_halfLds_sp_ip_CI_sbrr_dirReg
	.globl	fft_rtc_fwd_len1575_factors_3_3_5_7_5_wgs_63_tpt_63_halfLds_sp_ip_CI_sbrr_dirReg
	.p2align	8
	.type	fft_rtc_fwd_len1575_factors_3_3_5_7_5_wgs_63_tpt_63_halfLds_sp_ip_CI_sbrr_dirReg,@function
fft_rtc_fwd_len1575_factors_3_3_5_7_5_wgs_63_tpt_63_halfLds_sp_ip_CI_sbrr_dirReg: ; @fft_rtc_fwd_len1575_factors_3_3_5_7_5_wgs_63_tpt_63_halfLds_sp_ip_CI_sbrr_dirReg
; %bb.0:
	s_clause 0x2
	s_load_dwordx2 s[14:15], s[4:5], 0x18
	s_load_dwordx4 s[8:11], s[4:5], 0x0
	s_load_dwordx2 s[12:13], s[4:5], 0x50
	v_mul_u32_u24_e32 v1, 0x411, v0
	v_mov_b32_e32 v3, 0
	v_add_nc_u32_sdwa v5, s6, v1 dst_sel:DWORD dst_unused:UNUSED_PAD src0_sel:DWORD src1_sel:WORD_1
	v_mov_b32_e32 v1, 0
	v_mov_b32_e32 v6, v3
	v_mov_b32_e32 v2, 0
	s_waitcnt lgkmcnt(0)
	s_load_dwordx2 s[2:3], s[14:15], 0x0
	v_cmp_lt_u64_e64 s0, s[10:11], 2
	s_and_b32 vcc_lo, exec_lo, s0
	s_cbranch_vccnz .LBB0_8
; %bb.1:
	s_load_dwordx2 s[0:1], s[4:5], 0x10
	v_mov_b32_e32 v1, 0
	s_add_u32 s6, s14, 8
	v_mov_b32_e32 v2, 0
	s_addc_u32 s7, s15, 0
	s_mov_b64 s[18:19], 1
	s_waitcnt lgkmcnt(0)
	s_add_u32 s16, s0, 8
	s_addc_u32 s17, s1, 0
.LBB0_2:                                ; =>This Inner Loop Header: Depth=1
	s_load_dwordx2 s[20:21], s[16:17], 0x0
                                        ; implicit-def: $vgpr7_vgpr8
	s_mov_b32 s0, exec_lo
	s_waitcnt lgkmcnt(0)
	v_or_b32_e32 v4, s21, v6
	v_cmpx_ne_u64_e32 0, v[3:4]
	s_xor_b32 s1, exec_lo, s0
	s_cbranch_execz .LBB0_4
; %bb.3:                                ;   in Loop: Header=BB0_2 Depth=1
	v_cvt_f32_u32_e32 v4, s20
	v_cvt_f32_u32_e32 v7, s21
	s_sub_u32 s0, 0, s20
	s_subb_u32 s22, 0, s21
	v_fmac_f32_e32 v4, 0x4f800000, v7
	v_rcp_f32_e32 v4, v4
	v_mul_f32_e32 v4, 0x5f7ffffc, v4
	v_mul_f32_e32 v7, 0x2f800000, v4
	v_trunc_f32_e32 v7, v7
	v_fmac_f32_e32 v4, 0xcf800000, v7
	v_cvt_u32_f32_e32 v7, v7
	v_cvt_u32_f32_e32 v4, v4
	v_mul_lo_u32 v8, s0, v7
	v_mul_hi_u32 v9, s0, v4
	v_mul_lo_u32 v10, s22, v4
	v_add_nc_u32_e32 v8, v9, v8
	v_mul_lo_u32 v9, s0, v4
	v_add_nc_u32_e32 v8, v8, v10
	v_mul_hi_u32 v10, v4, v9
	v_mul_lo_u32 v11, v4, v8
	v_mul_hi_u32 v12, v4, v8
	v_mul_hi_u32 v13, v7, v9
	v_mul_lo_u32 v9, v7, v9
	v_mul_hi_u32 v14, v7, v8
	v_mul_lo_u32 v8, v7, v8
	v_add_co_u32 v10, vcc_lo, v10, v11
	v_add_co_ci_u32_e32 v11, vcc_lo, 0, v12, vcc_lo
	v_add_co_u32 v9, vcc_lo, v10, v9
	v_add_co_ci_u32_e32 v9, vcc_lo, v11, v13, vcc_lo
	v_add_co_ci_u32_e32 v10, vcc_lo, 0, v14, vcc_lo
	v_add_co_u32 v8, vcc_lo, v9, v8
	v_add_co_ci_u32_e32 v9, vcc_lo, 0, v10, vcc_lo
	v_add_co_u32 v4, vcc_lo, v4, v8
	v_add_co_ci_u32_e32 v7, vcc_lo, v7, v9, vcc_lo
	v_mul_hi_u32 v8, s0, v4
	v_mul_lo_u32 v10, s22, v4
	v_mul_lo_u32 v9, s0, v7
	v_add_nc_u32_e32 v8, v8, v9
	v_mul_lo_u32 v9, s0, v4
	v_add_nc_u32_e32 v8, v8, v10
	v_mul_hi_u32 v10, v4, v9
	v_mul_lo_u32 v11, v4, v8
	v_mul_hi_u32 v12, v4, v8
	v_mul_hi_u32 v13, v7, v9
	v_mul_lo_u32 v9, v7, v9
	v_mul_hi_u32 v14, v7, v8
	v_mul_lo_u32 v8, v7, v8
	v_add_co_u32 v10, vcc_lo, v10, v11
	v_add_co_ci_u32_e32 v11, vcc_lo, 0, v12, vcc_lo
	v_add_co_u32 v9, vcc_lo, v10, v9
	v_add_co_ci_u32_e32 v9, vcc_lo, v11, v13, vcc_lo
	v_add_co_ci_u32_e32 v10, vcc_lo, 0, v14, vcc_lo
	v_add_co_u32 v8, vcc_lo, v9, v8
	v_add_co_ci_u32_e32 v9, vcc_lo, 0, v10, vcc_lo
	v_add_co_u32 v4, vcc_lo, v4, v8
	v_add_co_ci_u32_e32 v11, vcc_lo, v7, v9, vcc_lo
	v_mul_hi_u32 v13, v5, v4
	v_mad_u64_u32 v[9:10], null, v6, v4, 0
	v_mad_u64_u32 v[7:8], null, v5, v11, 0
	;; [unrolled: 1-line block ×3, first 2 shown]
	v_add_co_u32 v4, vcc_lo, v13, v7
	v_add_co_ci_u32_e32 v7, vcc_lo, 0, v8, vcc_lo
	v_add_co_u32 v4, vcc_lo, v4, v9
	v_add_co_ci_u32_e32 v4, vcc_lo, v7, v10, vcc_lo
	v_add_co_ci_u32_e32 v7, vcc_lo, 0, v12, vcc_lo
	v_add_co_u32 v4, vcc_lo, v4, v11
	v_add_co_ci_u32_e32 v9, vcc_lo, 0, v7, vcc_lo
	v_mul_lo_u32 v10, s21, v4
	v_mad_u64_u32 v[7:8], null, s20, v4, 0
	v_mul_lo_u32 v11, s20, v9
	v_sub_co_u32 v7, vcc_lo, v5, v7
	v_add3_u32 v8, v8, v11, v10
	v_sub_nc_u32_e32 v10, v6, v8
	v_subrev_co_ci_u32_e64 v10, s0, s21, v10, vcc_lo
	v_add_co_u32 v11, s0, v4, 2
	v_add_co_ci_u32_e64 v12, s0, 0, v9, s0
	v_sub_co_u32 v13, s0, v7, s20
	v_sub_co_ci_u32_e32 v8, vcc_lo, v6, v8, vcc_lo
	v_subrev_co_ci_u32_e64 v10, s0, 0, v10, s0
	v_cmp_le_u32_e32 vcc_lo, s20, v13
	v_cmp_eq_u32_e64 s0, s21, v8
	v_cndmask_b32_e64 v13, 0, -1, vcc_lo
	v_cmp_le_u32_e32 vcc_lo, s21, v10
	v_cndmask_b32_e64 v14, 0, -1, vcc_lo
	v_cmp_le_u32_e32 vcc_lo, s20, v7
	;; [unrolled: 2-line block ×3, first 2 shown]
	v_cndmask_b32_e64 v15, 0, -1, vcc_lo
	v_cmp_eq_u32_e32 vcc_lo, s21, v10
	v_cndmask_b32_e64 v7, v15, v7, s0
	v_cndmask_b32_e32 v10, v14, v13, vcc_lo
	v_add_co_u32 v13, vcc_lo, v4, 1
	v_add_co_ci_u32_e32 v14, vcc_lo, 0, v9, vcc_lo
	v_cmp_ne_u32_e32 vcc_lo, 0, v10
	v_cndmask_b32_e32 v8, v14, v12, vcc_lo
	v_cndmask_b32_e32 v10, v13, v11, vcc_lo
	v_cmp_ne_u32_e32 vcc_lo, 0, v7
	v_cndmask_b32_e32 v8, v9, v8, vcc_lo
	v_cndmask_b32_e32 v7, v4, v10, vcc_lo
.LBB0_4:                                ;   in Loop: Header=BB0_2 Depth=1
	s_andn2_saveexec_b32 s0, s1
	s_cbranch_execz .LBB0_6
; %bb.5:                                ;   in Loop: Header=BB0_2 Depth=1
	v_cvt_f32_u32_e32 v4, s20
	s_sub_i32 s1, 0, s20
	v_rcp_iflag_f32_e32 v4, v4
	v_mul_f32_e32 v4, 0x4f7ffffe, v4
	v_cvt_u32_f32_e32 v4, v4
	v_mul_lo_u32 v7, s1, v4
	v_mul_hi_u32 v7, v4, v7
	v_add_nc_u32_e32 v4, v4, v7
	v_mul_hi_u32 v4, v5, v4
	v_mul_lo_u32 v7, v4, s20
	v_add_nc_u32_e32 v8, 1, v4
	v_sub_nc_u32_e32 v7, v5, v7
	v_subrev_nc_u32_e32 v9, s20, v7
	v_cmp_le_u32_e32 vcc_lo, s20, v7
	v_cndmask_b32_e32 v7, v7, v9, vcc_lo
	v_cndmask_b32_e32 v4, v4, v8, vcc_lo
	v_cmp_le_u32_e32 vcc_lo, s20, v7
	v_add_nc_u32_e32 v8, 1, v4
	v_cndmask_b32_e32 v7, v4, v8, vcc_lo
	v_mov_b32_e32 v8, v3
.LBB0_6:                                ;   in Loop: Header=BB0_2 Depth=1
	s_or_b32 exec_lo, exec_lo, s0
	s_load_dwordx2 s[0:1], s[6:7], 0x0
	v_mul_lo_u32 v4, v8, s20
	v_mul_lo_u32 v11, v7, s21
	v_mad_u64_u32 v[9:10], null, v7, s20, 0
	s_add_u32 s18, s18, 1
	s_addc_u32 s19, s19, 0
	s_add_u32 s6, s6, 8
	s_addc_u32 s7, s7, 0
	;; [unrolled: 2-line block ×3, first 2 shown]
	v_add3_u32 v4, v10, v11, v4
	v_sub_co_u32 v5, vcc_lo, v5, v9
	v_sub_co_ci_u32_e32 v4, vcc_lo, v6, v4, vcc_lo
	s_waitcnt lgkmcnt(0)
	v_mul_lo_u32 v6, s1, v5
	v_mul_lo_u32 v4, s0, v4
	v_mad_u64_u32 v[1:2], null, s0, v5, v[1:2]
	v_cmp_ge_u64_e64 s0, s[18:19], s[10:11]
	s_and_b32 vcc_lo, exec_lo, s0
	v_add3_u32 v2, v6, v2, v4
	s_cbranch_vccnz .LBB0_9
; %bb.7:                                ;   in Loop: Header=BB0_2 Depth=1
	v_mov_b32_e32 v5, v7
	v_mov_b32_e32 v6, v8
	s_branch .LBB0_2
.LBB0_8:
	v_mov_b32_e32 v8, v6
	v_mov_b32_e32 v7, v5
.LBB0_9:
	s_lshl_b64 s[0:1], s[10:11], 3
	v_mul_hi_u32 v3, 0x4104105, v0
	s_add_u32 s0, s14, s0
	s_addc_u32 s1, s15, s1
	s_load_dwordx2 s[4:5], s[4:5], 0x20
	s_load_dwordx2 s[0:1], s[0:1], 0x0
                                        ; implicit-def: $vgpr79
                                        ; implicit-def: $vgpr80
                                        ; implicit-def: $vgpr81
                                        ; implicit-def: $vgpr83
                                        ; implicit-def: $vgpr86
                                        ; implicit-def: $vgpr85
                                        ; implicit-def: $vgpr84
	v_mul_u32_u24_e32 v3, 63, v3
	v_sub_nc_u32_e32 v72, v0, v3
	v_add_nc_u32_e32 v77, 63, v72
	v_add_nc_u32_e32 v75, 0x7e, v72
	;; [unrolled: 1-line block ×5, first 2 shown]
	s_waitcnt lgkmcnt(0)
	v_cmp_gt_u64_e32 vcc_lo, s[4:5], v[7:8]
	v_mul_lo_u32 v3, s0, v8
	v_mul_lo_u32 v4, s1, v7
	v_mad_u64_u32 v[0:1], null, s0, v7, v[1:2]
	v_cmp_le_u64_e64 s0, s[4:5], v[7:8]
	v_add_nc_u32_e32 v76, 0x17a, v72
	v_add_nc_u32_e32 v74, 0x1b9, v72
	v_add3_u32 v1, v4, v1, v3
	s_and_saveexec_b32 s1, s0
	s_xor_b32 s0, exec_lo, s1
; %bb.10:
	v_add_nc_u32_e32 v79, 63, v72
	v_add_nc_u32_e32 v80, 0x7e, v72
	;; [unrolled: 1-line block ×7, first 2 shown]
; %bb.11:
	s_or_saveexec_b32 s1, s0
	v_lshlrev_b64 v[0:1], 3, v[0:1]
                                        ; implicit-def: $vgpr20
                                        ; implicit-def: $vgpr68
                                        ; implicit-def: $vgpr66
                                        ; implicit-def: $vgpr60
                                        ; implicit-def: $vgpr58
                                        ; implicit-def: $vgpr54
                                        ; implicit-def: $vgpr22
                                        ; implicit-def: $vgpr50
                                        ; implicit-def: $vgpr48
                                        ; implicit-def: $vgpr24
                                        ; implicit-def: $vgpr40
                                        ; implicit-def: $vgpr26
                                        ; implicit-def: $vgpr28
                                        ; implicit-def: $vgpr38
                                        ; implicit-def: $vgpr36
                                        ; implicit-def: $vgpr64
                                        ; implicit-def: $vgpr62
                                        ; implicit-def: $vgpr3
                                        ; implicit-def: $vgpr42
                                        ; implicit-def: $vgpr44
                                        ; implicit-def: $vgpr46
                                        ; implicit-def: $vgpr52
                                        ; implicit-def: $vgpr32
                                        ; implicit-def: $vgpr56
                                        ; implicit-def: $vgpr30
                                        ; implicit-def: $vgpr70
                                        ; implicit-def: $vgpr34
	s_xor_b32 exec_lo, exec_lo, s1
	s_cbranch_execz .LBB0_15
; %bb.12:
	v_mad_u64_u32 v[5:6], null, s2, v72, 0
	v_add_nc_u32_e32 v4, 0x20d, v72
	v_add_nc_u32_e32 v15, 0x41a, v72
	v_mad_u64_u32 v[11:12], null, s2, v77, 0
	v_add_nc_u32_e32 v18, 0x24c, v72
	v_mad_u64_u32 v[7:8], null, s2, v4, 0
	v_mov_b32_e32 v2, v6
	v_mad_u64_u32 v[9:10], null, s2, v15, 0
	v_add_nc_u32_e32 v20, 0x459, v72
	v_add_nc_u32_e32 v24, 0x28b, v72
	v_mad_u64_u32 v[2:3], null, s3, v72, v[2:3]
	v_mov_b32_e32 v3, v8
	v_add_nc_u32_e32 v27, 0x498, v72
	v_add_nc_u32_e32 v33, 0x2ca, v72
	;; [unrolled: 1-line block ×4, first 2 shown]
	v_mad_u64_u32 v[13:14], null, s3, v4, v[3:4]
	v_mov_b32_e32 v6, v2
	v_add_co_u32 v3, s0, s12, v0
	v_mov_b32_e32 v2, v12
	v_add_co_ci_u32_e64 v4, s0, s13, v1, s0
	v_mov_b32_e32 v8, v13
	v_mad_u64_u32 v[13:14], null, s3, v15, v[10:11]
	v_mad_u64_u32 v[15:16], null, s3, v77, v[2:3]
	;; [unrolled: 1-line block ×3, first 2 shown]
	v_lshlrev_b64 v[5:6], 3, v[5:6]
	v_lshlrev_b64 v[7:8], 3, v[7:8]
	v_mov_b32_e32 v10, v13
	v_mad_u64_u32 v[13:14], null, s2, v18, 0
	v_mov_b32_e32 v12, v15
	v_add_co_u32 v5, s0, v3, v5
	v_lshlrev_b64 v[9:10], 3, v[9:10]
	v_add_co_ci_u32_e64 v6, s0, v4, v6, s0
	v_mov_b32_e32 v2, v14
	v_add_co_u32 v7, s0, v3, v7
	v_lshlrev_b64 v[11:12], 3, v[11:12]
	v_add_co_ci_u32_e64 v8, s0, v4, v8, s0
	v_mad_u64_u32 v[18:19], null, s3, v18, v[2:3]
	v_mov_b32_e32 v2, v17
	v_add_co_u32 v9, s0, v3, v9
	v_add_co_ci_u32_e64 v10, s0, v4, v10, s0
	v_mad_u64_u32 v[20:21], null, s3, v20, v[2:3]
	v_mov_b32_e32 v14, v18
	v_mad_u64_u32 v[18:19], null, s2, v75, 0
	v_add_co_u32 v11, s0, v3, v11
	v_lshlrev_b64 v[13:14], 3, v[13:14]
	v_mov_b32_e32 v17, v20
	v_mad_u64_u32 v[20:21], null, s2, v24, 0
	v_mov_b32_e32 v2, v19
	v_add_co_ci_u32_e64 v12, s0, v4, v12, s0
	v_lshlrev_b64 v[15:16], 3, v[16:17]
	v_add_co_u32 v13, s0, v3, v13
	v_mad_u64_u32 v[22:23], null, s3, v75, v[2:3]
	v_mov_b32_e32 v2, v21
	v_add_co_ci_u32_e64 v14, s0, v4, v14, s0
	v_add_co_u32 v15, s0, v3, v15
	v_mad_u64_u32 v[24:25], null, s3, v24, v[2:3]
	v_mov_b32_e32 v19, v22
	v_mad_u64_u32 v[22:23], null, s2, v27, 0
	v_mad_u64_u32 v[25:26], null, s2, v73, 0
	v_lshlrev_b64 v[17:18], 3, v[18:19]
	v_mov_b32_e32 v21, v24
	v_add_co_ci_u32_e64 v16, s0, v4, v16, s0
	v_mov_b32_e32 v2, v23
	v_mad_u64_u32 v[53:54], null, s2, v74, 0
	v_lshlrev_b64 v[19:20], 3, v[20:21]
	v_add_co_u32 v17, s0, v3, v17
	v_mad_u64_u32 v[23:24], null, s3, v27, v[2:3]
	v_mad_u64_u32 v[27:28], null, s2, v33, 0
	v_mov_b32_e32 v2, v26
	v_add_co_ci_u32_e64 v18, s0, v4, v18, s0
	v_add_co_u32 v31, s0, v3, v19
	v_mad_u64_u32 v[29:30], null, s3, v73, v[2:3]
	v_mov_b32_e32 v2, v28
	v_add_nc_u32_e32 v30, 0x4d7, v72
	v_add_co_ci_u32_e64 v32, s0, v4, v20, s0
	v_lshlrev_b64 v[19:20], 3, v[22:23]
	v_mad_u64_u32 v[21:22], null, s3, v33, v[2:3]
	v_mad_u64_u32 v[22:23], null, s2, v30, 0
	v_mov_b32_e32 v26, v29
	v_add_co_u32 v35, s0, v3, v19
	v_add_co_ci_u32_e64 v36, s0, v4, v20, s0
	v_lshlrev_b64 v[19:20], 3, v[25:26]
	v_mov_b32_e32 v28, v21
	v_mov_b32_e32 v2, v23
	v_add_nc_u32_e32 v21, 0x309, v72
	v_mad_u64_u32 v[24:25], null, s2, v71, 0
	v_add_co_u32 v37, s0, v3, v19
	v_mad_u64_u32 v[29:30], null, s3, v30, v[2:3]
	v_mad_u64_u32 v[33:34], null, s2, v21, 0
	v_mov_b32_e32 v2, v25
	v_add_co_ci_u32_e64 v38, s0, v4, v20, s0
	v_lshlrev_b64 v[19:20], 3, v[27:28]
	v_add_nc_u32_e32 v28, 0x516, v72
	v_mov_b32_e32 v23, v29
	v_mad_u64_u32 v[25:26], null, s3, v71, v[2:3]
	v_mov_b32_e32 v2, v34
	v_mad_u64_u32 v[26:27], null, s2, v28, 0
	v_add_co_u32 v39, s0, v3, v19
	v_add_co_ci_u32_e64 v40, s0, v4, v20, s0
	v_lshlrev_b64 v[19:20], 3, v[22:23]
	v_mad_u64_u32 v[21:22], null, s3, v21, v[2:3]
	v_mad_u64_u32 v[22:23], null, s2, v78, 0
	v_mov_b32_e32 v2, v27
	v_add_nc_u32_e32 v30, 0x348, v72
	v_add_co_u32 v41, s0, v3, v19
	v_add_co_ci_u32_e64 v42, s0, v4, v20, s0
	v_lshlrev_b64 v[19:20], 3, v[24:25]
	v_mad_u64_u32 v[24:25], null, s3, v28, v[2:3]
	v_mov_b32_e32 v2, v23
	v_mad_u64_u32 v[28:29], null, s2, v30, 0
	v_mov_b32_e32 v34, v21
	v_add_co_u32 v46, s0, v3, v19
	v_mad_u64_u32 v[43:44], null, s3, v78, v[2:3]
	v_mad_u64_u32 v[44:45], null, s2, v48, 0
	v_mov_b32_e32 v27, v24
	v_mov_b32_e32 v2, v29
	v_add_co_ci_u32_e64 v47, s0, v4, v20, s0
	v_lshlrev_b64 v[19:20], 3, v[33:34]
	v_mov_b32_e32 v23, v43
	v_lshlrev_b64 v[24:25], 3, v[26:27]
	v_mad_u64_u32 v[26:27], null, s3, v30, v[2:3]
	v_mov_b32_e32 v21, v45
	v_add_co_u32 v51, s0, v3, v19
	v_add_co_ci_u32_e64 v52, s0, v4, v20, s0
	v_lshlrev_b64 v[19:20], 3, v[22:23]
	v_mad_u64_u32 v[33:34], null, s3, v48, v[21:22]
	v_mad_u64_u32 v[21:22], null, s2, v76, 0
	v_add_co_u32 v23, s0, v3, v24
	v_mov_b32_e32 v29, v26
	v_add_co_ci_u32_e64 v24, s0, v4, v25, s0
	v_add_co_u32 v25, s0, v3, v19
	v_add_co_ci_u32_e64 v26, s0, v4, v20, s0
	v_lshlrev_b64 v[19:20], 3, v[28:29]
	v_mad_u64_u32 v[27:28], null, s2, v50, 0
	v_mov_b32_e32 v2, v22
	v_mov_b32_e32 v45, v33
	s_mov_b32 s4, exec_lo
	v_add_co_u32 v43, s0, v3, v19
	v_mad_u64_u32 v[33:34], null, s3, v76, v[2:3]
	v_mov_b32_e32 v19, v28
	v_lshlrev_b64 v[29:30], 3, v[44:45]
	v_add_co_ci_u32_e64 v44, s0, v4, v20, s0
	v_add_nc_u32_e32 v45, 0x594, v72
	v_mad_u64_u32 v[19:20], null, s3, v50, v[19:20]
	v_mov_b32_e32 v22, v33
	v_add_co_u32 v61, s0, v3, v29
	v_mad_u64_u32 v[48:49], null, s2, v45, 0
	v_lshlrev_b64 v[20:21], 3, v[21:22]
	v_mov_b32_e32 v28, v19
	v_mov_b32_e32 v19, v54
	v_add_nc_u32_e32 v22, 0x3c6, v72
	v_add_co_ci_u32_e64 v62, s0, v4, v30, s0
	v_mov_b32_e32 v2, v49
	v_mad_u64_u32 v[33:34], null, s3, v74, v[19:20]
	v_add_nc_u32_e32 v34, 0x5d3, v72
	v_mad_u64_u32 v[55:56], null, s2, v22, 0
	v_mad_u64_u32 v[29:30], null, s3, v45, v[2:3]
	;; [unrolled: 1-line block ×3, first 2 shown]
	v_add_co_u32 v63, s0, v3, v20
	v_mov_b32_e32 v2, v56
	v_add_co_ci_u32_e64 v64, s0, v4, v21, s0
	v_mov_b32_e32 v49, v29
	v_mov_b32_e32 v21, v58
	v_mad_u64_u32 v[29:30], null, s3, v22, v[2:3]
	v_lshlrev_b64 v[27:28], 3, v[27:28]
	v_lshlrev_b64 v[19:20], 3, v[48:49]
	v_mad_u64_u32 v[21:22], null, s3, v34, v[21:22]
	v_mov_b32_e32 v54, v33
                                        ; implicit-def: $vgpr2
	v_add_co_u32 v27, s0, v3, v27
	v_mov_b32_e32 v56, v29
	v_add_co_ci_u32_e64 v28, s0, v4, v28, s0
	v_lshlrev_b64 v[33:34], 3, v[53:54]
	v_add_co_u32 v79, s0, v3, v19
	v_mov_b32_e32 v58, v21
	v_add_co_ci_u32_e64 v80, s0, v4, v20, s0
	v_lshlrev_b64 v[19:20], 3, v[55:56]
	v_add_co_u32 v81, s0, v3, v33
	v_lshlrev_b64 v[21:22], 3, v[57:58]
	v_add_co_ci_u32_e64 v82, s0, v4, v34, s0
	v_add_co_u32 v83, s0, v3, v19
	v_add_co_ci_u32_e64 v84, s0, v4, v20, s0
	v_add_co_u32 v85, s0, v3, v21
	v_add_co_ci_u32_e64 v86, s0, v4, v22, s0
	s_clause 0x17
	global_load_dwordx2 v[19:20], v[5:6], off
	global_load_dwordx2 v[67:68], v[7:8], off
	;; [unrolled: 1-line block ×24, first 2 shown]
                                        ; implicit-def: $vgpr61
                                        ; implicit-def: $vgpr63
	v_cmpx_gt_u32_e32 21, v72
	s_cbranch_execz .LBB0_14
; %bb.13:
	v_add_nc_u32_e32 v11, 0x1f8, v72
	v_add_nc_u32_e32 v12, 0x405, v72
	;; [unrolled: 1-line block ×3, first 2 shown]
	v_mad_u64_u32 v[5:6], null, s2, v11, 0
	v_mad_u64_u32 v[7:8], null, s2, v12, 0
	v_mad_u64_u32 v[9:10], null, s2, v13, 0
	v_mov_b32_e32 v2, v6
	v_mov_b32_e32 v6, v8
	;; [unrolled: 1-line block ×3, first 2 shown]
	v_mad_u64_u32 v[10:11], null, s3, v11, v[2:3]
	v_mad_u64_u32 v[11:12], null, s3, v12, v[6:7]
	;; [unrolled: 1-line block ×3, first 2 shown]
	v_mov_b32_e32 v6, v10
	v_mov_b32_e32 v8, v11
	;; [unrolled: 1-line block ×3, first 2 shown]
	v_lshlrev_b64 v[5:6], 3, v[5:6]
	v_lshlrev_b64 v[7:8], 3, v[7:8]
	;; [unrolled: 1-line block ×3, first 2 shown]
	v_add_co_u32 v5, s0, v3, v5
	v_add_co_ci_u32_e64 v6, s0, v4, v6, s0
	v_add_co_u32 v7, s0, v3, v7
	v_add_co_ci_u32_e64 v8, s0, v4, v8, s0
	;; [unrolled: 2-line block ×3, first 2 shown]
	s_clause 0x2
	global_load_dwordx2 v[2:3], v[5:6], off
	global_load_dwordx2 v[63:64], v[7:8], off
	global_load_dwordx2 v[61:62], v[9:10], off
.LBB0_14:
	s_or_b32 exec_lo, exec_lo, s4
	v_mov_b32_e32 v84, v74
	v_mov_b32_e32 v85, v76
	;; [unrolled: 1-line block ×7, first 2 shown]
.LBB0_15:
	s_or_b32 exec_lo, exec_lo, s1
	s_waitcnt vmcnt(21)
	v_add_f32_e32 v4, v67, v65
	v_add_f32_e32 v5, v19, v67
	v_sub_f32_e32 v6, v68, v66
	s_waitcnt vmcnt(18)
	v_add_f32_e32 v7, v69, v59
	s_waitcnt vmcnt(12)
	v_add_f32_e32 v10, v55, v49
	v_fmac_f32_e32 v19, -0.5, v4
	v_add_f32_e32 v4, v33, v59
	s_waitcnt vmcnt(9)
	v_add_f32_e32 v13, v51, v47
	v_fmac_f32_e32 v33, -0.5, v7
	s_waitcnt vmcnt(6)
	v_add_f32_e32 v14, v45, v39
	v_fmamk_f32 v7, v6, 0x3f5db3d7, v19
	v_fmac_f32_e32 v19, 0xbf5db3d7, v6
	v_add_f32_e32 v6, v57, v53
	v_sub_f32_e32 v8, v60, v70
	v_add_f32_e32 v11, v29, v57
	v_add_f32_e32 v12, v55, v21
	v_fmac_f32_e32 v21, -0.5, v10
	v_fmac_f32_e32 v29, -0.5, v6
	v_sub_f32_e32 v6, v58, v54
	v_sub_f32_e32 v10, v56, v50
	v_add_f32_e32 v15, v51, v31
	v_fmac_f32_e32 v31, -0.5, v13
	v_sub_f32_e32 v13, v52, v48
	v_add_f32_e32 v16, v23, v39
	v_fmac_f32_e32 v23, -0.5, v14
	v_sub_f32_e32 v14, v40, v46
	s_waitcnt vmcnt(3)
	v_add_f32_e32 v17, v41, v43
	v_add_f32_e32 v5, v5, v65
	v_fmamk_f32 v9, v8, 0x3f5db3d7, v33
	v_fmac_f32_e32 v33, 0xbf5db3d7, v8
	v_fmamk_f32 v8, v6, 0x3f5db3d7, v29
	v_fmac_f32_e32 v29, 0xbf5db3d7, v6
	;; [unrolled: 2-line block ×5, first 2 shown]
	v_add_f32_e32 v14, v43, v25
	v_fmac_f32_e32 v25, -0.5, v17
	v_mad_u32_u24 v17, v72, 12, 0
	v_add_f32_e32 v4, v69, v4
	v_mad_i32_i24 v97, v79, 12, 0
	v_add_f32_e32 v11, v11, v53
	v_mad_i32_i24 v98, v80, 12, 0
	ds_write2_b32 v17, v5, v7 offset1:1
	v_sub_f32_e32 v5, v44, v42
	v_add_f32_e32 v7, v41, v14
	s_waitcnt vmcnt(0)
	v_add_f32_e32 v14, v37, v35
	ds_write_b32 v17, v19 offset:8
	ds_write2_b32 v97, v4, v9 offset1:1
	v_fmamk_f32 v4, v5, 0x3f5db3d7, v25
	v_fmac_f32_e32 v25, 0xbf5db3d7, v5
	v_add_f32_e32 v5, v27, v37
	v_fmac_f32_e32 v27, -0.5, v14
	ds_write_b32 v97, v33 offset:8
	ds_write2_b32 v98, v11, v8 offset1:1
	v_sub_f32_e32 v8, v38, v36
	v_add_f32_e32 v9, v63, v61
	v_add_f32_e32 v12, v12, v49
	v_mad_i32_i24 v33, v81, 12, 0
	ds_write_b32 v98, v29 offset:8
	ds_write2_b32 v33, v12, v6 offset1:1
	v_fmamk_f32 v6, v8, 0x3f5db3d7, v27
	v_add_f32_e32 v11, v63, v2
	v_fmac_f32_e32 v27, 0xbf5db3d7, v8
	v_fmac_f32_e32 v2, -0.5, v9
	v_sub_f32_e32 v8, v64, v62
	v_add_f32_e32 v15, v15, v47
	v_mad_i32_i24 v29, v83, 12, 0
	v_add_f32_e32 v87, v61, v11
	ds_write_b32 v33, v21 offset:8
	ds_write2_b32 v29, v15, v10 offset1:1
	v_fmamk_f32 v88, v8, 0x3f5db3d7, v2
	v_fmac_f32_e32 v2, 0xbf5db3d7, v8
	v_mul_u32_u24_e32 v8, 12, v72
	v_mad_i32_i24 v99, v86, 12, 0
	v_mad_i32_i24 v100, v85, 12, 0
	;; [unrolled: 1-line block ×3, first 2 shown]
	v_cmp_gt_u32_e64 s0, 21, v72
	v_add_nc_u32_e32 v21, 0, v8
	v_add_f32_e32 v16, v16, v45
	v_add_f32_e32 v5, v5, v35
	ds_write_b32 v29, v31 offset:8
	ds_write2_b32 v99, v16, v13 offset1:1
	ds_write_b32 v99, v23 offset:8
	ds_write2_b32 v100, v7, v4 offset1:1
	;; [unrolled: 2-line block ×3, first 2 shown]
	ds_write_b32 v101, v27 offset:8
	s_and_saveexec_b32 s1, s0
	s_cbranch_execz .LBB0_17
; %bb.16:
	v_add_nc_u32_e32 v4, 0x17a0, v21
	ds_write2_b32 v4, v87, v88 offset1:1
	ds_write_b32 v21, v2 offset:6056
.LBB0_17:
	s_or_b32 exec_lo, exec_lo, s1
	v_lshl_add_u32 v82, v72, 2, 0
	v_lshlrev_b32_e32 v23, 3, v79
	v_lshlrev_b32_e32 v27, 3, v80
	;; [unrolled: 1-line block ×4, first 2 shown]
	v_add_nc_u32_e32 v8, 0x800, v82
	v_add_nc_u32_e32 v10, 0x1000, v82
	;; [unrolled: 1-line block ×3, first 2 shown]
	v_lshlrev_b32_e32 v106, 3, v86
	v_lshlrev_b32_e32 v105, 3, v85
	;; [unrolled: 1-line block ×3, first 2 shown]
	v_sub_nc_u32_e32 v31, v97, v23
	v_add_nc_u32_e32 v17, 0x1400, v82
	v_sub_nc_u32_e32 v89, v98, v27
	v_sub_nc_u32_e32 v90, v33, v25
	;; [unrolled: 1-line block ×3, first 2 shown]
	s_waitcnt lgkmcnt(0)
	s_barrier
	buffer_gl0_inv
	ds_read2_b32 v[6:7], v8 offset0:13 offset1:76
	ds_read2_b32 v[4:5], v10 offset0:26 offset1:89
	;; [unrolled: 1-line block ×6, first 2 shown]
	v_sub_nc_u32_e32 v103, v99, v106
	v_sub_nc_u32_e32 v104, v100, v105
	ds_read2_b32 v[18:19], v16 offset0:135 offset1:198
	ds_read2_b32 v[16:17], v17 offset0:148 offset1:211
	v_sub_nc_u32_e32 v108, v101, v107
	ds_read_b32 v96, v82
	ds_read_b32 v95, v31
	ds_read_b32 v94, v89
	ds_read_b32 v93, v90
	ds_read_b32 v92, v91
	ds_read_b32 v91, v103
	ds_read_b32 v90, v104
	ds_read_b32 v89, v108
	s_and_saveexec_b32 s1, s0
	s_cbranch_execz .LBB0_19
; %bb.18:
	ds_read_b32 v87, v82 offset:2016
	ds_read_b32 v88, v82 offset:4116
	;; [unrolled: 1-line block ×3, first 2 shown]
.LBB0_19:
	s_or_b32 exec_lo, exec_lo, s1
	v_sub_nc_u32_e32 v104, 0, v23
	v_add_f32_e32 v23, v68, v66
	v_sub_nc_u32_e32 v103, 0, v27
	v_add_f32_e32 v27, v20, v68
	v_sub_f32_e32 v49, v55, v49
	v_sub_f32_e32 v39, v39, v45
	v_fmac_f32_e32 v20, -0.5, v23
	v_sub_f32_e32 v23, v67, v65
	v_add_f32_e32 v27, v27, v66
	v_add_f32_e32 v66, v70, v60
	v_sub_f32_e32 v35, v37, v35
	v_add_f32_e32 v37, v64, v3
	v_fmamk_f32 v68, v23, 0xbf5db3d7, v20
	v_fmac_f32_e32 v20, 0x3f5db3d7, v23
	v_add_f32_e32 v23, v58, v54
	v_add_f32_e32 v58, v30, v58
	;; [unrolled: 1-line block ×3, first 2 shown]
	v_fmac_f32_e32 v34, -0.5, v66
	v_sub_f32_e32 v59, v59, v69
	v_fmac_f32_e32 v30, -0.5, v23
	v_sub_f32_e32 v23, v57, v53
	v_add_f32_e32 v54, v58, v54
	v_add_f32_e32 v57, v56, v50
	;; [unrolled: 1-line block ×3, first 2 shown]
	v_sub_nc_u32_e32 v31, 0, v25
	v_fmamk_f32 v58, v23, 0xbf5db3d7, v30
	v_fmac_f32_e32 v30, 0x3f5db3d7, v23
	v_add_f32_e32 v23, v52, v48
	v_add_f32_e32 v55, v56, v50
	v_add_f32_e32 v50, v52, v32
	v_fmac_f32_e32 v22, -0.5, v57
	v_sub_nc_u32_e32 v102, 0, v102
	v_fmac_f32_e32 v32, -0.5, v23
	v_sub_f32_e32 v23, v51, v47
	v_sub_nc_u32_e32 v25, 0, v106
	v_fmamk_f32 v47, v49, 0xbf5db3d7, v22
	v_fmac_f32_e32 v22, 0x3f5db3d7, v49
	v_add_f32_e32 v49, v46, v40
	v_fmamk_f32 v51, v23, 0xbf5db3d7, v32
	v_fmac_f32_e32 v32, 0x3f5db3d7, v23
	v_add_f32_e32 v23, v42, v44
	v_add_f32_e32 v44, v44, v26
	;; [unrolled: 1-line block ×3, first 2 shown]
	v_fmac_f32_e32 v24, -0.5, v49
	v_sub_nc_u32_e32 v67, 0, v105
	v_fmac_f32_e32 v26, -0.5, v23
	v_sub_f32_e32 v23, v43, v41
	v_sub_nc_u32_e32 v65, 0, v107
	v_fmamk_f32 v41, v39, 0xbf5db3d7, v24
	v_fmac_f32_e32 v24, 0x3f5db3d7, v39
	v_add_f32_e32 v39, v42, v44
	v_fmamk_f32 v43, v23, 0xbf5db3d7, v26
	v_fmac_f32_e32 v26, 0x3f5db3d7, v23
	v_add_f32_e32 v23, v64, v62
	v_add_f32_e32 v42, v38, v36
	;; [unrolled: 1-line block ×5, first 2 shown]
	v_fmac_f32_e32 v3, -0.5, v23
	v_sub_f32_e32 v23, v63, v61
	v_fmac_f32_e32 v28, -0.5, v42
	v_add_f32_e32 v38, v38, v36
	v_add_f32_e32 v36, v62, v37
	v_add_nc_u32_e32 v50, 0x1f8, v72
	v_fmamk_f32 v46, v23, 0xbf5db3d7, v3
	v_fmac_f32_e32 v3, 0x3f5db3d7, v23
	v_add_f32_e32 v60, v70, v60
	v_fmamk_f32 v53, v59, 0xbf5db3d7, v34
	v_fmac_f32_e32 v34, 0x3f5db3d7, v59
	v_fmamk_f32 v42, v35, 0xbf5db3d7, v28
	v_fmac_f32_e32 v28, 0x3f5db3d7, v35
	s_waitcnt lgkmcnt(0)
	s_barrier
	buffer_gl0_inv
	ds_write2_b32 v21, v27, v68 offset1:1
	ds_write_b32 v21, v20 offset:8
	ds_write2_b32 v97, v60, v53 offset1:1
	ds_write_b32 v97, v34 offset:8
	;; [unrolled: 2-line block ×8, first 2 shown]
	s_and_saveexec_b32 s1, s0
	s_cbranch_execz .LBB0_21
; %bb.20:
	v_mad_u32_u24 v20, v50, 12, 0
	ds_write2_b32 v20, v36, v46 offset1:1
	ds_write_b32 v20, v3 offset:8
.LBB0_21:
	s_or_b32 exec_lo, exec_lo, s1
	v_add_nc_u32_e32 v20, 0x800, v82
	v_add_nc_u32_e32 v24, 0x1000, v82
	;; [unrolled: 1-line block ×9, first 2 shown]
	s_waitcnt lgkmcnt(0)
	s_barrier
	buffer_gl0_inv
	ds_read2_b32 v[26:27], v20 offset0:13 offset1:76
	ds_read2_b32 v[22:23], v24 offset0:26 offset1:89
	;; [unrolled: 1-line block ×6, first 2 shown]
	v_add_nc_u32_e32 v55, v99, v25
	ds_read2_b32 v[28:29], v28 offset0:135 offset1:198
	ds_read2_b32 v[24:25], v37 offset0:148 offset1:211
	v_add_nc_u32_e32 v37, v101, v65
	ds_read_b32 v45, v82
	ds_read_b32 v44, v51
	;; [unrolled: 1-line block ×8, first 2 shown]
	s_and_saveexec_b32 s1, s0
	s_cbranch_execz .LBB0_23
; %bb.22:
	ds_read_b32 v36, v82 offset:2016
	ds_read_b32 v46, v82 offset:4116
	;; [unrolled: 1-line block ×3, first 2 shown]
.LBB0_23:
	s_or_b32 exec_lo, exec_lo, s1
	v_and_b32_e32 v37, 0xff, v72
	v_and_b32_e32 v58, 0xff, v79
	;; [unrolled: 1-line block ×4, first 2 shown]
	v_mov_b32_e32 v59, 0xaaab
	v_mul_lo_u16 v48, 0xab, v37
	v_mul_lo_u16 v49, 0xab, v58
	;; [unrolled: 1-line block ×4, first 2 shown]
	v_mov_b32_e32 v47, 4
	v_lshrrev_b16 v48, 9, v48
	v_lshrrev_b16 v49, 9, v49
	;; [unrolled: 1-line block ×4, first 2 shown]
	v_mul_u32_u24_sdwa v62, v83, v59 dst_sel:DWORD dst_unused:UNUSED_PAD src0_sel:WORD_0 src1_sel:DWORD
	v_mul_lo_u16 v60, v48, 3
	v_mul_lo_u16 v65, v49, 3
	v_mul_u32_u24_sdwa v63, v86, v59 dst_sel:DWORD dst_unused:UNUSED_PAD src0_sel:WORD_0 src1_sel:DWORD
	v_mul_lo_u16 v67, v64, 3
	v_mul_u32_u24_sdwa v66, v85, v59 dst_sel:DWORD dst_unused:UNUSED_PAD src0_sel:WORD_0 src1_sel:DWORD
	v_sub_nc_u16 v68, v72, v60
	v_sub_nc_u16 v65, v79, v65
	v_mul_lo_u16 v60, v61, 3
	v_lshrrev_b32_e32 v62, 17, v62
	v_sub_nc_u16 v67, v80, v67
	v_lshlrev_b32_sdwa v69, v47, v68 dst_sel:DWORD dst_unused:UNUSED_PAD src0_sel:DWORD src1_sel:BYTE_0
	v_lshlrev_b32_sdwa v70, v47, v65 dst_sel:DWORD dst_unused:UNUSED_PAD src0_sel:DWORD src1_sel:BYTE_0
	v_lshrrev_b32_e32 v63, 17, v63
	v_sub_nc_u16 v97, v81, v60
	v_lshlrev_b32_sdwa v60, v47, v67 dst_sel:DWORD dst_unused:UNUSED_PAD src0_sel:DWORD src1_sel:BYTE_0
	s_clause 0x1
	global_load_dwordx4 v[110:113], v69, s[8:9]
	global_load_dwordx4 v[114:117], v70, s[8:9]
	v_mul_u32_u24_sdwa v69, v84, v59 dst_sel:DWORD dst_unused:UNUSED_PAD src0_sel:WORD_0 src1_sel:DWORD
	v_mul_lo_u16 v98, v62, 3
	v_mul_lo_u16 v99, v63, 3
	v_lshrrev_b32_e32 v66, 17, v66
	v_mul_u32_u24_sdwa v59, v50, v59 dst_sel:DWORD dst_unused:UNUSED_PAD src0_sel:WORD_0 src1_sel:DWORD
	v_lshlrev_b32_sdwa v70, v47, v97 dst_sel:DWORD dst_unused:UNUSED_PAD src0_sel:DWORD src1_sel:BYTE_0
	v_lshrrev_b32_e32 v69, 17, v69
	v_sub_nc_u16 v98, v83, v98
	s_clause 0x1
	global_load_dwordx4 v[118:121], v60, s[8:9]
	global_load_dwordx4 v[122:125], v70, s[8:9]
	v_mul_lo_u16 v60, v66, 3
	v_sub_nc_u16 v70, v86, v99
	v_lshrrev_b32_e32 v59, 17, v59
	v_mul_lo_u16 v99, v69, 3
	v_lshlrev_b32_sdwa v86, v47, v98 dst_sel:DWORD dst_unused:UNUSED_PAD src0_sel:DWORD src1_sel:WORD_0
	v_sub_nc_u16 v100, v85, v60
	v_lshlrev_b32_sdwa v60, v47, v70 dst_sel:DWORD dst_unused:UNUSED_PAD src0_sel:DWORD src1_sel:WORD_0
	v_mul_lo_u16 v85, v59, 3
	v_sub_nc_u16 v84, v84, v99
	global_load_dwordx4 v[126:129], v86, s[8:9]
	v_mul_u32_u24_e32 v62, 36, v62
	global_load_dwordx4 v[130:133], v60, s[8:9]
	v_sub_nc_u16 v60, v50, v85
	v_lshlrev_b32_sdwa v86, v47, v100 dst_sel:DWORD dst_unused:UNUSED_PAD src0_sel:DWORD src1_sel:WORD_0
	v_lshlrev_b32_sdwa v85, v47, v84 dst_sel:DWORD dst_unused:UNUSED_PAD src0_sel:DWORD src1_sel:WORD_0
	v_mul_u32_u24_e32 v63, 36, v63
	v_mul_u32_u24_e32 v99, 36, v69
	v_lshlrev_b32_sdwa v47, v47, v60 dst_sel:DWORD dst_unused:UNUSED_PAD src0_sel:DWORD src1_sel:WORD_0
	s_clause 0x2
	global_load_dwordx4 v[134:137], v86, s[8:9]
	global_load_dwordx4 v[138:141], v85, s[8:9]
	;; [unrolled: 1-line block ×3, first 2 shown]
	v_mov_b32_e32 v47, 36
	v_mov_b32_e32 v85, 2
	v_mul_u32_u24_e32 v86, 36, v66
	s_waitcnt vmcnt(0) lgkmcnt(0)
	s_barrier
	v_mul_u32_u24_sdwa v48, v48, v47 dst_sel:DWORD dst_unused:UNUSED_PAD src0_sel:WORD_0 src1_sel:DWORD
	v_mul_u32_u24_sdwa v49, v49, v47 dst_sel:DWORD dst_unused:UNUSED_PAD src0_sel:WORD_0 src1_sel:DWORD
	;; [unrolled: 1-line block ×4, first 2 shown]
	v_mul_lo_u16 v61, v59, 9
	v_lshlrev_b32_sdwa v59, v85, v68 dst_sel:DWORD dst_unused:UNUSED_PAD src0_sel:DWORD src1_sel:BYTE_0
	v_lshlrev_b32_sdwa v65, v85, v65 dst_sel:DWORD dst_unused:UNUSED_PAD src0_sel:DWORD src1_sel:BYTE_0
	v_lshlrev_b32_sdwa v66, v85, v67 dst_sel:DWORD dst_unused:UNUSED_PAD src0_sel:DWORD src1_sel:BYTE_0
	v_lshlrev_b32_sdwa v68, v85, v97 dst_sel:DWORD dst_unused:UNUSED_PAD src0_sel:DWORD src1_sel:BYTE_0
	v_lshlrev_b32_sdwa v97, v85, v98 dst_sel:DWORD dst_unused:UNUSED_PAD src0_sel:DWORD src1_sel:WORD_0
	v_lshlrev_b32_sdwa v70, v85, v70 dst_sel:DWORD dst_unused:UNUSED_PAD src0_sel:DWORD src1_sel:WORD_0
	;; [unrolled: 1-line block ×4, first 2 shown]
	v_add3_u32 v67, 0, v48, v59
	v_add3_u32 v65, 0, v49, v65
	;; [unrolled: 1-line block ×8, first 2 shown]
	buffer_gl0_inv
	v_mul_f32_e32 v108, v26, v111
	v_mul_f32_e32 v107, v6, v111
	;; [unrolled: 1-line block ×8, first 2 shown]
	v_fma_f32 v109, v6, v110, -v108
	v_fmac_f32_e32 v107, v26, v110
	v_mul_f32_e32 v117, v20, v119
	v_mul_f32_e32 v103, v8, v119
	;; [unrolled: 1-line block ×8, first 2 shown]
	v_fma_f32 v110, v4, v112, -v111
	v_fma_f32 v108, v7, v114, -v113
	v_fmac_f32_e32 v105, v23, v116
	v_mul_f32_e32 v125, v32, v127
	v_mul_f32_e32 v99, v14, v127
	;; [unrolled: 1-line block ×8, first 2 shown]
	v_fma_f32 v23, v8, v118, -v117
	v_mul_f32_e32 v133, v28, v135
	v_mul_f32_e32 v86, v18, v135
	;; [unrolled: 1-line block ×12, first 2 shown]
	v_fmac_f32_e32 v106, v27, v114
	v_fma_f32 v7, v88, v142, -v141
	v_fma_f32 v27, v5, v116, -v115
	;; [unrolled: 1-line block ×4, first 2 shown]
	v_fmac_f32_e32 v104, v22, v112
	v_fmac_f32_e32 v103, v20, v118
	v_fma_f32 v22, v9, v122, -v121
	v_fmac_f32_e32 v101, v21, v122
	v_fma_f32 v21, v11, v124, -v123
	v_fma_f32 v14, v14, v126, -v125
	;; [unrolled: 1-line block ×9, first 2 shown]
	v_fmac_f32_e32 v70, v46, v142
	v_fmac_f32_e32 v84, v3, v144
	v_add_f32_e32 v2, v96, v109
	v_add_f32_e32 v3, v109, v110
	;; [unrolled: 1-line block ×4, first 2 shown]
	v_fmac_f32_e32 v100, v34, v120
	v_add_f32_e32 v18, v23, v26
	v_fmac_f32_e32 v102, v35, v124
	v_fmac_f32_e32 v99, v32, v126
	;; [unrolled: 1-line block ×9, first 2 shown]
	v_sub_f32_e32 v5, v107, v104
	v_add_f32_e32 v13, v95, v108
	v_add_f32_e32 v17, v94, v23
	;; [unrolled: 1-line block ×8, first 2 shown]
	v_sub_f32_e32 v115, v70, v84
	v_add_f32_e32 v116, v2, v110
	v_fmac_f32_e32 v96, -0.5, v3
	v_fma_f32 v2, -0.5, v114, v87
	v_sub_f32_e32 v16, v106, v105
	v_fmac_f32_e32 v95, -0.5, v15
	v_sub_f32_e32 v19, v103, v100
	v_fmac_f32_e32 v94, -0.5, v18
	v_add_f32_e32 v24, v93, v22
	v_sub_f32_e32 v28, v101, v102
	v_sub_f32_e32 v31, v99, v97
	v_add_f32_e32 v32, v91, v11
	v_sub_f32_e32 v34, v98, v59
	v_add_f32_e32 v35, v90, v9
	;; [unrolled: 2-line block ×4, first 2 shown]
	v_add_f32_e32 v13, v17, v26
	v_fmac_f32_e32 v93, -0.5, v25
	v_add_f32_e32 v17, v29, v20
	v_fmac_f32_e32 v92, -0.5, v30
	v_fmac_f32_e32 v91, -0.5, v33
	;; [unrolled: 1-line block ×4, first 2 shown]
	v_fmamk_f32 v29, v5, 0x3f5db3d7, v96
	v_fmac_f32_e32 v96, 0xbf5db3d7, v5
	v_fmamk_f32 v5, v115, 0x3f5db3d7, v2
	v_fmac_f32_e32 v2, 0xbf5db3d7, v115
	;; [unrolled: 2-line block ×3, first 2 shown]
	v_fmamk_f32 v16, v19, 0x3f5db3d7, v94
	v_add_f32_e32 v15, v24, v21
	v_add_f32_e32 v18, v32, v12
	;; [unrolled: 1-line block ×4, first 2 shown]
	v_fmac_f32_e32 v94, 0xbf5db3d7, v19
	v_fmamk_f32 v19, v28, 0x3f5db3d7, v93
	v_fmac_f32_e32 v93, 0xbf5db3d7, v28
	v_fmamk_f32 v28, v31, 0x3f5db3d7, v92
	;; [unrolled: 2-line block ×5, first 2 shown]
	v_fmac_f32_e32 v89, 0xbf5db3d7, v113
	ds_write2_b32 v67, v116, v29 offset1:3
	ds_write_b32 v67, v96 offset:24
	ds_write2_b32 v65, v3, v30 offset1:3
	ds_write_b32 v65, v95 offset:24
	;; [unrolled: 2-line block ×8, first 2 shown]
	s_and_saveexec_b32 s1, s0
	s_cbranch_execz .LBB0_25
; %bb.24:
	v_add_f32_e32 v3, v87, v7
	v_lshlrev_b32_sdwa v13, v85, v60 dst_sel:DWORD dst_unused:UNUSED_PAD src0_sel:DWORD src1_sel:WORD_0
	v_lshlrev_b32_sdwa v15, v85, v61 dst_sel:DWORD dst_unused:UNUSED_PAD src0_sel:DWORD src1_sel:WORD_0
	v_add_f32_e32 v3, v3, v8
	v_add3_u32 v13, 0, v13, v15
	ds_write2_b32 v13, v3, v5 offset1:3
	ds_write_b32 v13, v2 offset:24
.LBB0_25:
	s_or_b32 exec_lo, exec_lo, s1
	v_add_f32_e32 v3, v107, v104
	v_add_f32_e32 v13, v45, v107
	v_sub_f32_e32 v15, v109, v110
	v_sub_f32_e32 v11, v11, v12
	v_add_f32_e32 v16, v106, v105
	v_fmac_f32_e32 v45, -0.5, v3
	v_add_f32_e32 v3, v44, v106
	v_add_f32_e32 v32, v13, v104
	;; [unrolled: 1-line block ×4, first 2 shown]
	v_fmamk_f32 v85, v15, 0xbf5db3d7, v45
	v_add_f32_e32 v87, v3, v105
	v_add_f32_e32 v3, v103, v100
	v_fmac_f32_e32 v45, 0x3f5db3d7, v15
	v_add_f32_e32 v15, v101, v102
	v_add_f32_e32 v89, v13, v100
	;; [unrolled: 1-line block ×3, first 2 shown]
	v_fmac_f32_e32 v43, -0.5, v3
	v_sub_f32_e32 v3, v23, v26
	v_fmac_f32_e32 v42, -0.5, v15
	v_sub_f32_e32 v15, v22, v21
	v_add_f32_e32 v91, v13, v102
	v_add_f32_e32 v13, v41, v99
	v_fmamk_f32 v90, v3, 0xbf5db3d7, v43
	v_fmac_f32_e32 v43, 0x3f5db3d7, v3
	v_add_f32_e32 v3, v99, v97
	v_fmamk_f32 v92, v15, 0xbf5db3d7, v42
	v_fmac_f32_e32 v42, 0x3f5db3d7, v15
	v_add_f32_e32 v15, v98, v59
	v_add_f32_e32 v93, v13, v97
	v_fmac_f32_e32 v41, -0.5, v3
	v_sub_f32_e32 v3, v14, v20
	v_add_f32_e32 v13, v40, v98
	v_fmac_f32_e32 v40, -0.5, v15
	v_sub_f32_e32 v9, v9, v10
	v_add_f32_e32 v10, v47, v48
	v_fmamk_f32 v94, v3, 0xbf5db3d7, v41
	v_fmac_f32_e32 v41, 0x3f5db3d7, v3
	v_add_f32_e32 v3, v39, v86
	v_fmamk_f32 v96, v11, 0xbf5db3d7, v40
	v_fmac_f32_e32 v40, 0x3f5db3d7, v11
	v_add_f32_e32 v11, v38, v47
	v_sub_f32_e32 v17, v108, v27
	v_add_f32_e32 v86, v3, v49
	v_add_f32_e32 v3, v70, v84
	v_fmac_f32_e32 v44, -0.5, v16
	v_add_f32_e32 v95, v13, v59
	v_fmac_f32_e32 v39, -0.5, v12
	v_fmac_f32_e32 v38, -0.5, v10
	v_sub_f32_e32 v4, v4, v6
	v_fma_f32 v6, -0.5, v3, v36
	v_sub_f32_e32 v3, v7, v8
	v_add_nc_u32_e32 v34, 0xc00, v82
	v_add_nc_u32_e32 v13, 0x1200, v82
	;; [unrolled: 1-line block ×8, first 2 shown]
	v_add_f32_e32 v98, v11, v48
	v_add_nc_u32_e32 v48, 0x1000, v82
	v_fmamk_f32 v88, v17, 0xbf5db3d7, v44
	v_fmac_f32_e32 v44, 0x3f5db3d7, v17
	v_fmamk_f32 v97, v9, 0xbf5db3d7, v39
	v_fmac_f32_e32 v39, 0x3f5db3d7, v9
	;; [unrolled: 2-line block ×4, first 2 shown]
	s_waitcnt lgkmcnt(0)
	s_barrier
	buffer_gl0_inv
	ds_read_b32 v28, v82
	ds_read2_b32 v[18:19], v12 offset0:118 offset1:181
	ds_read2_b32 v[3:4], v34 offset0:114 offset1:177
	;; [unrolled: 1-line block ×7, first 2 shown]
	ds_read_b32 v31, v52
	ds_read_b32 v30, v53
	ds_read2_b32 v[14:15], v29 offset0:120 offset1:183
	ds_read2_b32 v[7:8], v48 offset0:110 offset1:173
	ds_read_b32 v59, v55
	ds_read_b32 v11, v54
	;; [unrolled: 1-line block ×3, first 2 shown]
	ds_read_b32 v10, v82 offset:6048
	s_waitcnt lgkmcnt(0)
	s_barrier
	buffer_gl0_inv
	ds_write2_b32 v67, v32, v85 offset1:3
	ds_write_b32 v67, v45 offset:24
	ds_write2_b32 v65, v87, v88 offset1:3
	ds_write_b32 v65, v44 offset:24
	;; [unrolled: 2-line block ×8, first 2 shown]
	s_and_saveexec_b32 s1, s0
	s_cbranch_execz .LBB0_27
; %bb.26:
	v_mov_b32_e32 v32, 2
	v_add_f32_e32 v36, v36, v70
	v_lshlrev_b32_sdwa v38, v32, v60 dst_sel:DWORD dst_unused:UNUSED_PAD src0_sel:DWORD src1_sel:WORD_0
	v_lshlrev_b32_sdwa v32, v32, v61 dst_sel:DWORD dst_unused:UNUSED_PAD src0_sel:DWORD src1_sel:WORD_0
	v_add_f32_e32 v36, v36, v84
	v_add3_u32 v32, 0, v38, v32
	ds_write2_b32 v32, v36, v9 offset1:3
	ds_write_b32 v32, v6 offset:24
.LBB0_27:
	s_or_b32 exec_lo, exec_lo, s1
	v_mul_lo_u16 v32, v37, 57
	s_waitcnt lgkmcnt(0)
	s_barrier
	buffer_gl0_inv
	v_mov_b32_e32 v85, 0xb4
	v_lshrrev_b16 v38, 9, v32
	v_mul_lo_u16 v32, v58, 57
	v_mov_b32_e32 v86, 2
	v_cmp_gt_u32_e64 s0, 36, v72
	v_mul_lo_u16 v36, v38, 9
	v_lshrrev_b16 v39, 9, v32
	v_mov_b32_e32 v32, 5
	v_mul_u32_u24_sdwa v38, v38, v85 dst_sel:DWORD dst_unused:UNUSED_PAD src0_sel:WORD_0 src1_sel:DWORD
	v_sub_nc_u16 v40, v72, v36
	v_mul_lo_u16 v36, v57, 57
	v_mul_lo_u16 v37, v39, 9
	v_mul_u32_u24_sdwa v39, v39, v85 dst_sel:DWORD dst_unused:UNUSED_PAD src0_sel:WORD_0 src1_sel:DWORD
	v_lshlrev_b32_sdwa v41, v32, v40 dst_sel:DWORD dst_unused:UNUSED_PAD src0_sel:DWORD src1_sel:BYTE_0
	v_lshrrev_b16 v42, 9, v36
	v_mul_lo_u16 v36, v56, 57
	v_sub_nc_u16 v43, v79, v37
	v_lshlrev_b32_sdwa v40, v86, v40 dst_sel:DWORD dst_unused:UNUSED_PAD src0_sel:DWORD src1_sel:BYTE_0
	s_clause 0x1
	global_load_dwordx4 v[61:64], v41, s[8:9] offset:48
	global_load_dwordx4 v[65:68], v41, s[8:9] offset:64
	v_mul_lo_u16 v37, v42, 9
	v_lshrrev_b16 v44, 9, v36
	v_lshlrev_b32_sdwa v36, v32, v43 dst_sel:DWORD dst_unused:UNUSED_PAD src0_sel:DWORD src1_sel:BYTE_0
	v_mul_u32_u24_sdwa v87, v42, v85 dst_sel:DWORD dst_unused:UNUSED_PAD src0_sel:WORD_0 src1_sel:DWORD
	v_lshlrev_b32_sdwa v43, v86, v43 dst_sel:DWORD dst_unused:UNUSED_PAD src0_sel:DWORD src1_sel:BYTE_0
	v_sub_nc_u16 v41, v80, v37
	v_mul_lo_u16 v37, v44, 9
	s_clause 0x1
	global_load_dwordx4 v[88:91], v36, s[8:9] offset:48
	global_load_dwordx4 v[96:99], v36, s[8:9] offset:64
	v_mul_u32_u24_sdwa v44, v44, v85 dst_sel:DWORD dst_unused:UNUSED_PAD src0_sel:WORD_0 src1_sel:DWORD
	v_lshlrev_b32_sdwa v45, v32, v41 dst_sel:DWORD dst_unused:UNUSED_PAD src0_sel:DWORD src1_sel:BYTE_0
	v_sub_nc_u16 v60, v81, v37
	v_lshlrev_b32_sdwa v85, v86, v41 dst_sel:DWORD dst_unused:UNUSED_PAD src0_sel:DWORD src1_sel:BYTE_0
	v_add3_u32 v42, 0, v38, v40
	v_add3_u32 v41, 0, v39, v43
	global_load_dwordx4 v[112:115], v45, s[8:9] offset:48
	v_lshlrev_b32_sdwa v36, v32, v60 dst_sel:DWORD dst_unused:UNUSED_PAD src0_sel:DWORD src1_sel:BYTE_0
	s_clause 0x2
	global_load_dwordx4 v[116:119], v45, s[8:9] offset:64
	global_load_dwordx4 v[120:123], v36, s[8:9] offset:48
	;; [unrolled: 1-line block ×3, first 2 shown]
	v_mov_b32_e32 v36, 0xe38f
	v_lshlrev_b32_sdwa v60, v86, v60 dst_sel:DWORD dst_unused:UNUSED_PAD src0_sel:DWORD src1_sel:BYTE_0
	v_add3_u32 v40, 0, v87, v85
	v_mul_u32_u24_sdwa v36, v83, v36 dst_sel:DWORD dst_unused:UNUSED_PAD src0_sel:WORD_0 src1_sel:DWORD
	v_add3_u32 v38, 0, v44, v60
	v_lshrrev_b32_e32 v45, 19, v36
	v_mul_lo_u16 v36, v45, 9
	v_mul_u32_u24_e32 v45, 0xb4, v45
	v_sub_nc_u16 v84, v83, v36
	v_lshlrev_b32_sdwa v32, v32, v84 dst_sel:DWORD dst_unused:UNUSED_PAD src0_sel:DWORD src1_sel:WORD_0
	s_clause 0x1
	global_load_dwordx4 v[128:131], v32, s[8:9] offset:48
	global_load_dwordx4 v[132:135], v32, s[8:9] offset:64
	ds_read_b32 v32, v82
	ds_read2_b32 v[69:70], v12 offset0:118 offset1:181
	ds_read2_b32 v[136:137], v34 offset0:114 offset1:177
	;; [unrolled: 1-line block ×7, first 2 shown]
	ds_read_b32 v33, v53
	ds_read2_b32 v[148:149], v29 offset0:120 offset1:183
	ds_read2_b32 v[150:151], v48 offset0:110 offset1:173
	ds_read_b32 v104, v55
	ds_read_b32 v13, v54
	;; [unrolled: 1-line block ×4, first 2 shown]
	ds_read_b32 v152, v82 offset:6048
	v_lshlrev_b32_sdwa v84, v86, v84 dst_sel:DWORD dst_unused:UNUSED_PAD src0_sel:DWORD src1_sel:WORD_0
	s_waitcnt vmcnt(0) lgkmcnt(0)
	s_barrier
	buffer_gl0_inv
	v_add3_u32 v39, 0, v45, v84
	v_mul_f32_e32 v45, v104, v62
	v_mul_f32_e32 v102, v59, v62
	;; [unrolled: 1-line block ×8, first 2 shown]
	v_fma_f32 v108, v59, v61, -v45
	v_mul_f32_e32 v68, v140, v89
	v_mul_f32_e32 v92, v24, v89
	;; [unrolled: 1-line block ×23, first 2 shown]
	v_fmac_f32_e32 v102, v104, v61
	v_fma_f32 v109, v18, v63, -v62
	v_fma_f32 v110, v4, v65, -v64
	;; [unrolled: 1-line block ×5, first 2 shown]
	v_fmac_f32_e32 v92, v140, v88
	v_fmac_f32_e32 v93, v70, v90
	v_fma_f32 v105, v22, v96, -v91
	v_fmac_f32_e32 v94, v142, v96
	v_fma_f32 v107, v27, v98, -v97
	;; [unrolled: 2-line block ×3, first 2 shown]
	v_fma_f32 v96, v16, v114, -v113
	v_fma_f32 v97, v23, v116, -v115
	;; [unrolled: 1-line block ×5, first 2 shown]
	v_mul_f32_e32 v66, v21, v127
	v_fma_f32 v89, v7, v124, -v123
	v_mul_f32_e32 v4, v149, v129
	v_mul_f32_e32 v14, v136, v131
	;; [unrolled: 1-line block ×4, first 2 shown]
	v_fma_f32 v91, v21, v126, -v125
	v_fmac_f32_e32 v103, v69, v63
	v_fmac_f32_e32 v101, v137, v65
	;; [unrolled: 1-line block ×4, first 2 shown]
	v_mul_f32_e32 v45, v15, v129
	v_mul_f32_e32 v64, v3, v131
	;; [unrolled: 1-line block ×4, first 2 shown]
	v_fma_f32 v69, v15, v128, -v4
	v_fma_f32 v67, v3, v130, -v14
	;; [unrolled: 1-line block ×4, first 2 shown]
	v_add_f32_e32 v4, v109, v110
	v_sub_f32_e32 v14, v108, v109
	v_sub_f32_e32 v15, v111, v110
	v_add_f32_e32 v16, v108, v111
	v_sub_f32_e32 v17, v109, v108
	v_sub_f32_e32 v18, v110, v111
	v_add_f32_e32 v19, v49, v106
	v_add_f32_e32 v20, v104, v105
	v_sub_f32_e32 v23, v106, v104
	v_sub_f32_e32 v24, v107, v105
	v_add_f32_e32 v25, v106, v107
	;; [unrolled: 4-line block ×3, first 2 shown]
	v_fmac_f32_e32 v85, v144, v114
	v_fmac_f32_e32 v86, v143, v116
	;; [unrolled: 1-line block ×7, first 2 shown]
	v_sub_f32_e32 v26, v104, v106
	v_sub_f32_e32 v27, v105, v107
	v_add_f32_e32 v61, v96, v97
	v_add_f32_e32 v114, v98, v99
	;; [unrolled: 1-line block ×4, first 2 shown]
	v_fmac_f32_e32 v45, v149, v128
	v_fmac_f32_e32 v64, v136, v130
	;; [unrolled: 1-line block ×4, first 2 shown]
	v_add_f32_e32 v3, v28, v108
	v_sub_f32_e32 v8, v102, v100
	v_sub_f32_e32 v21, v92, v95
	;; [unrolled: 1-line block ×6, first 2 shown]
	v_fma_f32 v126, -0.5, v4, v28
	v_add_f32_e32 v14, v14, v15
	v_fmac_f32_e32 v28, -0.5, v16
	v_add_f32_e32 v15, v17, v18
	v_add_f32_e32 v4, v19, v104
	v_fma_f32 v16, -0.5, v20, v49
	v_add_f32_e32 v17, v23, v24
	v_fmac_f32_e32 v49, -0.5, v25
	v_add_f32_e32 v19, v59, v96
	v_add_f32_e32 v23, v112, v113
	;; [unrolled: 1-line block ×6, first 2 shown]
	v_sub_f32_e32 v10, v103, v101
	v_sub_f32_e32 v22, v93, v94
	;; [unrolled: 1-line block ×6, first 2 shown]
	v_add_f32_e32 v18, v26, v27
	v_fma_f32 v20, -0.5, v61, v31
	v_fmac_f32_e32 v31, -0.5, v114
	v_fma_f32 v26, -0.5, v118, v30
	v_fmac_f32_e32 v30, -0.5, v123
	v_sub_f32_e32 v115, v96, v98
	v_sub_f32_e32 v116, v97, v99
	v_add_f32_e32 v3, v3, v109
	v_add_f32_e32 v27, v121, v122
	;; [unrolled: 1-line block ×3, first 2 shown]
	v_sub_f32_e32 v113, v45, v7
	v_sub_f32_e32 v114, v64, v65
	v_fmamk_f32 v122, v8, 0x3f737871, v126
	v_fmac_f32_e32 v126, 0xbf737871, v8
	v_add_f32_e32 v124, v4, v105
	v_fmamk_f32 v125, v21, 0x3f737871, v16
	v_fmac_f32_e32 v16, 0xbf737871, v21
	v_add_f32_e32 v59, v59, v67
	v_fma_f32 v4, -0.5, v112, v11
	v_fmac_f32_e32 v11, -0.5, v117
	v_fmamk_f32 v123, v10, 0xbf737871, v28
	v_fmac_f32_e32 v28, 0x3f737871, v10
	v_fmamk_f32 v127, v22, 0xbf737871, v49
	v_fmac_f32_e32 v49, 0x3f737871, v22
	;; [unrolled: 2-line block ×6, first 2 shown]
	v_add_f32_e32 v24, v115, v116
	v_sub_f32_e32 v115, v69, v67
	v_sub_f32_e32 v116, v70, v68
	;; [unrolled: 1-line block ×4, first 2 shown]
	v_add_f32_e32 v3, v3, v110
	v_fmac_f32_e32 v122, 0x3f167918, v10
	v_fmac_f32_e32 v126, 0xbf167918, v10
	;; [unrolled: 1-line block ×4, first 2 shown]
	v_add_f32_e32 v22, v59, v68
	v_fmamk_f32 v59, v113, 0x3f737871, v4
	v_fmac_f32_e32 v4, 0xbf737871, v113
	v_fmamk_f32 v10, v114, 0xbf737871, v11
	v_fmac_f32_e32 v11, 0x3f737871, v114
	v_fmac_f32_e32 v123, 0x3f167918, v8
	;; [unrolled: 1-line block ×3, first 2 shown]
	v_add_f32_e32 v19, v19, v97
	v_add_f32_e32 v25, v25, v89
	v_fmac_f32_e32 v127, 0x3f167918, v21
	v_fmac_f32_e32 v49, 0xbf167918, v21
	;; [unrolled: 1-line block ×6, first 2 shown]
	v_add_f32_e32 v112, v115, v116
	v_add_f32_e32 v115, v118, v121
	;; [unrolled: 1-line block ×3, first 2 shown]
	v_fmac_f32_e32 v128, 0x3f167918, v63
	v_fmac_f32_e32 v129, 0x3f167918, v62
	;; [unrolled: 1-line block ×12, first 2 shown]
	v_add_f32_e32 v8, v124, v107
	v_fmac_f32_e32 v125, 0x3e9e377a, v17
	v_add_f32_e32 v19, v19, v99
	v_add_f32_e32 v21, v25, v91
	v_fmac_f32_e32 v16, 0x3e9e377a, v17
	v_fmac_f32_e32 v127, 0x3e9e377a, v18
	;; [unrolled: 1-line block ×7, first 2 shown]
	v_add_f32_e32 v14, v22, v70
	v_fmac_f32_e32 v128, 0x3e9e377a, v23
	v_fmac_f32_e32 v129, 0x3e9e377a, v24
	;; [unrolled: 1-line block ×8, first 2 shown]
	ds_write2_b32 v42, v3, v122 offset1:9
	ds_write2_b32 v42, v123, v28 offset0:18 offset1:27
	ds_write_b32 v42, v126 offset:144
	ds_write2_b32 v41, v8, v125 offset1:9
	ds_write2_b32 v41, v127, v49 offset0:18 offset1:27
	ds_write_b32 v41, v16 offset:144
	;; [unrolled: 3-line block ×5, first 2 shown]
	s_waitcnt lgkmcnt(0)
	s_barrier
	buffer_gl0_inv
	ds_read2_b32 v[30:31], v82 offset1:225
	ds_read2_b32 v[28:29], v29 offset0:66 offset1:129
	ds_read2_b32 v[16:17], v12 offset0:64 offset1:163
	;; [unrolled: 1-line block ×8, first 2 shown]
	ds_read_b32 v61, v52
	ds_read_b32 v62, v51
	ds_read_b32 v63, v82 offset:5904
	s_and_saveexec_b32 s1, s0
	s_cbranch_execz .LBB0_29
; %bb.28:
	v_add_nc_u32_e32 v2, 0x600, v82
	v_add_nc_u32_e32 v3, 0xd80, v82
	;; [unrolled: 1-line block ×3, first 2 shown]
	ds_read_b32 v59, v53
	ds_read2_b32 v[10:11], v2 offset0:30 offset1:255
	ds_read2_b32 v[4:5], v3 offset1:225
	ds_read2_b32 v[2:3], v8 offset0:2 offset1:227
.LBB0_29:
	s_or_b32 exec_lo, exec_lo, s1
	v_add_f32_e32 v8, v103, v101
	v_add_f32_e32 v12, v32, v102
	v_sub_f32_e32 v34, v108, v111
	v_sub_f32_e32 v35, v109, v110
	;; [unrolled: 1-line block ×3, first 2 shown]
	v_fma_f32 v47, -0.5, v8, v32
	v_add_f32_e32 v12, v12, v103
	v_sub_f32_e32 v8, v100, v101
	v_add_f32_e32 v48, v102, v100
	v_sub_f32_e32 v49, v103, v102
	v_fmamk_f32 v102, v34, 0xbf737871, v47
	v_sub_f32_e32 v103, v101, v100
	v_add_f32_e32 v12, v12, v101
	v_fmac_f32_e32 v47, 0x3f737871, v34
	v_fmac_f32_e32 v32, -0.5, v48
	v_add_f32_e32 v8, v46, v8
	v_fmac_f32_e32 v102, 0xbf167918, v35
	v_add_f32_e32 v100, v12, v100
	v_fmac_f32_e32 v47, 0x3f167918, v35
	v_add_f32_e32 v12, v49, v103
	v_add_f32_e32 v49, v37, v92
	v_fmamk_f32 v46, v35, 0x3f737871, v32
	v_fmac_f32_e32 v102, 0x3e9e377a, v8
	v_fmac_f32_e32 v47, 0x3e9e377a, v8
	v_fmac_f32_e32 v32, 0xbf737871, v35
	v_add_f32_e32 v8, v49, v93
	v_add_f32_e32 v48, v93, v94
	v_fmac_f32_e32 v46, 0xbf167918, v34
	v_sub_f32_e32 v49, v104, v105
	v_sub_f32_e32 v103, v92, v93
	;; [unrolled: 1-line block ×3, first 2 shown]
	v_fmac_f32_e32 v32, 0x3f167918, v34
	v_add_f32_e32 v8, v8, v94
	v_fma_f32 v48, -0.5, v48, v37
	v_sub_f32_e32 v101, v106, v107
	v_fmac_f32_e32 v46, 0x3e9e377a, v12
	v_add_f32_e32 v105, v92, v95
	v_add_f32_e32 v34, v103, v104
	v_fmac_f32_e32 v32, 0x3e9e377a, v12
	v_add_f32_e32 v103, v8, v95
	v_sub_f32_e32 v8, v93, v92
	v_sub_f32_e32 v12, v94, v95
	v_add_f32_e32 v92, v36, v84
	v_fmamk_f32 v35, v101, 0xbf737871, v48
	v_fmac_f32_e32 v37, -0.5, v105
	v_fmac_f32_e32 v48, 0x3f737871, v101
	v_add_f32_e32 v93, v85, v86
	v_add_f32_e32 v8, v8, v12
	;; [unrolled: 1-line block ×3, first 2 shown]
	v_fmac_f32_e32 v35, 0xbf167918, v49
	v_fmamk_f32 v104, v49, 0x3f737871, v37
	v_fmac_f32_e32 v48, 0x3f167918, v49
	v_fmac_f32_e32 v37, 0xbf737871, v49
	v_fma_f32 v49, -0.5, v93, v36
	v_sub_f32_e32 v92, v98, v99
	v_add_f32_e32 v12, v12, v86
	v_add_f32_e32 v93, v84, v87
	v_fmac_f32_e32 v35, 0x3e9e377a, v34
	v_fmac_f32_e32 v104, 0xbf167918, v101
	;; [unrolled: 1-line block ×4, first 2 shown]
	v_fmamk_f32 v34, v92, 0xbf737871, v49
	v_sub_f32_e32 v94, v96, v97
	v_sub_f32_e32 v95, v84, v85
	;; [unrolled: 1-line block ×3, first 2 shown]
	v_fmac_f32_e32 v36, -0.5, v93
	v_add_f32_e32 v93, v12, v87
	v_fmac_f32_e32 v49, 0x3f737871, v92
	v_sub_f32_e32 v12, v85, v84
	v_sub_f32_e32 v84, v86, v87
	v_add_f32_e32 v85, v44, v60
	v_fmac_f32_e32 v104, 0x3e9e377a, v8
	v_fmac_f32_e32 v37, 0x3e9e377a, v8
	;; [unrolled: 1-line block ×3, first 2 shown]
	v_add_f32_e32 v8, v95, v96
	v_fmamk_f32 v95, v94, 0x3f737871, v36
	v_fmac_f32_e32 v49, 0x3f167918, v94
	v_add_f32_e32 v12, v12, v84
	v_fmac_f32_e32 v36, 0xbf737871, v94
	v_add_f32_e32 v84, v33, v43
	v_fma_f32 v85, -0.5, v85, v33
	v_sub_f32_e32 v86, v90, v91
	v_fmac_f32_e32 v34, 0x3e9e377a, v8
	v_fmac_f32_e32 v95, 0xbf167918, v92
	;; [unrolled: 1-line block ×4, first 2 shown]
	v_add_f32_e32 v8, v84, v44
	v_fmamk_f32 v84, v86, 0xbf737871, v85
	v_sub_f32_e32 v87, v88, v89
	v_sub_f32_e32 v88, v43, v44
	;; [unrolled: 1-line block ×3, first 2 shown]
	v_fmac_f32_e32 v85, 0x3f737871, v86
	v_add_f32_e32 v90, v43, v66
	v_fmac_f32_e32 v95, 0x3e9e377a, v12
	v_add_f32_e32 v8, v8, v60
	v_fmac_f32_e32 v84, 0xbf167918, v87
	v_add_f32_e32 v88, v88, v89
	v_fmac_f32_e32 v85, 0x3f167918, v87
	v_fmac_f32_e32 v33, -0.5, v90
	v_fmac_f32_e32 v36, 0x3e9e377a, v12
	v_sub_f32_e32 v12, v44, v43
	v_sub_f32_e32 v43, v60, v66
	v_add_f32_e32 v44, v13, v45
	v_add_f32_e32 v89, v8, v66
	v_fmac_f32_e32 v84, 0x3e9e377a, v88
	v_fmac_f32_e32 v85, 0x3e9e377a, v88
	v_fmamk_f32 v88, v87, 0x3f737871, v33
	v_add_f32_e32 v8, v64, v65
	v_fmac_f32_e32 v33, 0xbf737871, v87
	v_add_f32_e32 v12, v12, v43
	v_add_f32_e32 v43, v44, v64
	v_add_f32_e32 v44, v45, v7
	v_fma_f32 v8, -0.5, v8, v13
	v_sub_f32_e32 v66, v69, v70
	v_fmac_f32_e32 v88, 0xbf167918, v86
	v_fmac_f32_e32 v33, 0x3f167918, v86
	v_sub_f32_e32 v67, v67, v68
	v_fmac_f32_e32 v13, -0.5, v44
	v_fmamk_f32 v60, v66, 0xbf737871, v8
	v_fmac_f32_e32 v88, 0x3e9e377a, v12
	v_fmac_f32_e32 v33, 0x3e9e377a, v12
	v_sub_f32_e32 v44, v45, v64
	v_sub_f32_e32 v68, v7, v65
	v_fmac_f32_e32 v8, 0x3f737871, v66
	v_fmamk_f32 v12, v67, 0x3f737871, v13
	v_sub_f32_e32 v45, v64, v45
	v_sub_f32_e32 v64, v65, v7
	v_fmac_f32_e32 v13, 0xbf737871, v67
	v_add_f32_e32 v43, v43, v65
	v_fmac_f32_e32 v60, 0xbf167918, v67
	v_add_f32_e32 v44, v44, v68
	v_fmac_f32_e32 v8, 0x3f167918, v67
	v_fmac_f32_e32 v12, 0xbf167918, v66
	v_add_f32_e32 v45, v45, v64
	v_fmac_f32_e32 v13, 0x3f167918, v66
	v_add_f32_e32 v7, v43, v7
	v_fmac_f32_e32 v60, 0x3e9e377a, v44
	v_fmac_f32_e32 v8, 0x3e9e377a, v44
	;; [unrolled: 1-line block ×4, first 2 shown]
	s_waitcnt lgkmcnt(0)
	s_barrier
	buffer_gl0_inv
	ds_write2_b32 v42, v100, v102 offset1:9
	ds_write2_b32 v42, v46, v32 offset0:18 offset1:27
	ds_write_b32 v42, v47 offset:144
	ds_write2_b32 v41, v103, v35 offset1:9
	ds_write2_b32 v41, v104, v37 offset0:18 offset1:27
	ds_write_b32 v41, v48 offset:144
	;; [unrolled: 3-line block ×5, first 2 shown]
	v_add_nc_u32_e32 v36, 0xc00, v82
	v_add_nc_u32_e32 v7, 0x600, v82
	;; [unrolled: 1-line block ×7, first 2 shown]
	s_waitcnt lgkmcnt(0)
	s_barrier
	buffer_gl0_inv
	ds_read2_b32 v[32:33], v82 offset1:225
	ds_read2_b32 v[40:41], v7 offset0:66 offset1:129
	ds_read2_b32 v[34:35], v34 offset0:64 offset1:163
	;; [unrolled: 1-line block ×8, first 2 shown]
	ds_read_b32 v64, v52
	ds_read_b32 v65, v51
	ds_read_b32 v67, v82 offset:5904
	s_and_saveexec_b32 s1, s0
	s_cbranch_execz .LBB0_31
; %bb.30:
	v_add_nc_u32_e32 v6, 0xd80, v82
	v_add_nc_u32_e32 v66, 0x1480, v82
	ds_read_b32 v60, v53
	ds_read2_b32 v[12:13], v7 offset0:30 offset1:255
	ds_read2_b32 v[8:9], v6 offset1:225
	ds_read2_b32 v[6:7], v66 offset0:2 offset1:227
.LBB0_31:
	s_or_b32 exec_lo, exec_lo, s1
	v_subrev_nc_u32_e32 v66, 45, v72
	v_cmp_gt_u32_e64 s1, 45, v72
	v_mov_b32_e32 v69, 0
	v_mul_lo_u16 v58, 0x6d, v58
	v_mul_lo_u16 v57, 0x6d, v57
	;; [unrolled: 1-line block ×3, first 2 shown]
	v_cndmask_b32_e64 v66, v66, v72, s1
	v_lshrrev_b16 v58, 8, v58
	v_lshrrev_b16 v57, 8, v57
	v_lshrrev_b16 v56, 8, v56
	v_mul_i32_i24_e32 v68, 6, v66
	v_lshlrev_b32_e32 v66, 2, v66
	v_sub_nc_u16 v70, v79, v58
	v_sub_nc_u16 v89, v81, v56
	v_lshlrev_b64 v[68:69], 3, v[68:69]
	v_lshrrev_b16 v89, 1, v89
	v_add_co_u32 v68, s1, s8, v68
	v_add_co_ci_u32_e64 v69, s1, s9, v69, s1
	v_cmp_lt_u32_e64 s1, 44, v72
	s_clause 0x2
	global_load_dwordx4 v[85:88], v[68:69], off offset:336
	global_load_dwordx4 v[93:96], v[68:69], off offset:352
	;; [unrolled: 1-line block ×3, first 2 shown]
	v_lshrrev_b16 v68, 1, v70
	v_sub_nc_u16 v69, v80, v57
	v_and_b32_e32 v68, 0x7f, v68
	v_add_nc_u16 v58, v68, v58
	v_lshrrev_b16 v68, 1, v69
	v_lshrrev_b16 v58, 5, v58
	v_and_b32_e32 v68, 0x7f, v68
	v_mul_lo_u16 v69, v58, 45
	v_add_nc_u16 v57, v68, v57
	v_mov_b32_e32 v68, 6
	v_sub_nc_u16 v69, v79, v69
	v_lshrrev_b16 v57, 5, v57
	v_mul_u32_u24_sdwa v70, v69, v68 dst_sel:DWORD dst_unused:UNUSED_PAD src0_sel:BYTE_0 src1_sel:DWORD
	v_mul_lo_u16 v84, v57, 45
	v_lshlrev_b32_e32 v70, 3, v70
	v_sub_nc_u16 v84, v80, v84
	s_clause 0x2
	global_load_dwordx4 v[102:105], v70, s[8:9] offset:336
	global_load_dwordx4 v[106:109], v70, s[8:9] offset:352
	;; [unrolled: 1-line block ×3, first 2 shown]
	v_and_b32_e32 v70, 0x7f, v89
	v_mul_u32_u24_sdwa v68, v84, v68 dst_sel:DWORD dst_unused:UNUSED_PAD src0_sel:BYTE_0 src1_sel:DWORD
	v_cndmask_b32_e64 v89, 0, 0x4ec, s1
	v_add_nc_u16 v56, v70, v56
	v_lshlrev_b32_e32 v68, 3, v68
	s_clause 0x1
	global_load_dwordx4 v[114:117], v68, s[8:9] offset:336
	global_load_dwordx4 v[118:121], v68, s[8:9] offset:352
	v_lshrrev_b16 v56, 5, v56
	global_load_dwordx4 v[122:125], v68, s[8:9] offset:368
	v_mov_b32_e32 v70, 2
	v_add3_u32 v66, 0, v89, v66
	v_mul_lo_u16 v56, v56, 45
	v_sub_nc_u16 v56, v81, v56
	v_and_b32_e32 v56, 0xff, v56
	v_mul_u32_u24_e32 v68, 6, v56
	v_lshl_add_u32 v56, v56, 2, 0
	v_lshlrev_b32_e32 v68, 3, v68
	s_clause 0x2
	global_load_dwordx4 v[126:129], v68, s[8:9] offset:336
	global_load_dwordx4 v[130:133], v68, s[8:9] offset:352
	;; [unrolled: 1-line block ×3, first 2 shown]
	v_mov_b32_e32 v68, 0x4ec
	s_waitcnt vmcnt(0) lgkmcnt(0)
	s_barrier
	buffer_gl0_inv
	v_mul_u32_u24_sdwa v58, v58, v68 dst_sel:DWORD dst_unused:UNUSED_PAD src0_sel:WORD_0 src1_sel:DWORD
	v_mul_u32_u24_sdwa v57, v57, v68 dst_sel:DWORD dst_unused:UNUSED_PAD src0_sel:WORD_0 src1_sel:DWORD
	v_lshlrev_b32_sdwa v68, v70, v69 dst_sel:DWORD dst_unused:UNUSED_PAD src0_sel:DWORD src1_sel:BYTE_0
	v_lshlrev_b32_sdwa v69, v70, v84 dst_sel:DWORD dst_unused:UNUSED_PAD src0_sel:DWORD src1_sel:BYTE_0
	v_add3_u32 v58, 0, v58, v68
	v_add3_u32 v57, 0, v57, v69
	v_mul_f32_e32 v89, v33, v86
	v_mul_f32_e32 v69, v31, v86
	;; [unrolled: 1-line block ×12, first 2 shown]
	v_fma_f32 v90, v31, v85, -v89
	v_fma_f32 v89, v28, v87, -v86
	v_fmac_f32_e32 v70, v40, v87
	v_fma_f32 v91, v17, v93, -v91
	v_fmac_f32_e32 v68, v35, v93
	v_fma_f32 v93, v26, v95, -v92
	v_fma_f32 v97, v24, v100, -v97
	;; [unrolled: 1-line block ×3, first 2 shown]
	v_fmac_f32_e32 v84, v48, v95
	v_fmac_f32_e32 v88, v37, v98
	;; [unrolled: 1-line block ×4, first 2 shown]
	v_add_f32_e32 v15, v90, v97
	v_add_f32_e32 v17, v89, v96
	;; [unrolled: 1-line block ×3, first 2 shown]
	v_sub_f32_e32 v28, v70, v88
	v_sub_f32_e32 v31, v84, v68
	v_sub_f32_e32 v24, v69, v94
	v_add_f32_e32 v33, v17, v15
	v_sub_f32_e32 v35, v17, v15
	v_sub_f32_e32 v15, v15, v26
	v_sub_f32_e32 v17, v26, v17
	v_add_f32_e32 v37, v31, v28
	;; [unrolled: 4-line block ×3, first 2 shown]
	v_add_f32_e32 v24, v37, v24
	v_mul_f32_e32 v15, 0x3f4a47b2, v15
	v_mul_f32_e32 v26, 0x3d64c772, v17
	;; [unrolled: 1-line block ×4, first 2 shown]
	v_add_f32_e32 v99, v30, v33
	v_fma_f32 v138, 0xbf3bfb3b, v35, -v15
	v_fma_f32 v101, 0x3f3bfb3b, v35, -v26
	;; [unrolled: 1-line block ×3, first 2 shown]
	v_mul_f32_e32 v28, v44, v103
	v_mul_f32_e32 v85, v22, v103
	;; [unrolled: 1-line block ×8, first 2 shown]
	v_fmamk_f32 v100, v17, 0x3d64c772, v15
	v_mul_f32_e32 v35, v14, v121
	v_fmamk_f32 v139, v31, 0x3eae86e6, v37
	v_fma_f32 v141, 0xbeae86e6, v31, -v40
	v_mul_f32_e32 v31, v42, v107
	v_mul_f32_e32 v48, v20, v107
	;; [unrolled: 1-line block ×14, first 2 shown]
	v_fmamk_f32 v33, v33, 0xbf955555, v99
	v_fma_f32 v98, v22, v102, -v28
	v_fmac_f32_e32 v85, v44, v102
	v_fma_f32 v22, v29, v104, -v30
	v_fmac_f32_e32 v87, v49, v108
	;; [unrolled: 2-line block ×4, first 2 shown]
	v_mul_f32_e32 v46, v63, v125
	v_fmac_f32_e32 v86, v41, v104
	v_fma_f32 v41, v20, v106, -v31
	v_fmac_f32_e32 v48, v42, v106
	v_mul_f32_e32 v36, v8, v131
	v_mul_f32_e32 v38, v6, v135
	v_fma_f32 v42, v27, v108, -v37
	v_fmac_f32_e32 v95, v47, v112
	v_fma_f32 v18, v23, v114, -v107
	v_fma_f32 v16, v16, v116, -v109
	;; [unrolled: 1-line block ×4, first 2 shown]
	v_fmac_f32_e32 v40, v39, v122
	v_fma_f32 v21, v63, v124, -v117
	v_mul_f32_e32 v29, v12, v127
	v_mul_f32_e32 v23, v4, v131
	v_mul_f32_e32 v37, v9, v133
	v_mul_f32_e32 v39, v7, v137
	v_mul_f32_e32 v30, v3, v137
	v_fmac_f32_e32 v17, v45, v114
	v_fmac_f32_e32 v15, v43, v118
	v_mul_f32_e32 v28, v2, v135
	v_add_f32_e32 v43, v100, v33
	v_add_f32_e32 v45, v101, v33
	;; [unrolled: 1-line block ×3, first 2 shown]
	v_fma_f32 v33, v4, v130, -v36
	v_fma_f32 v38, v2, v134, -v38
	v_add_f32_e32 v2, v98, v49
	v_add_f32_e32 v4, v22, v44
	v_fmac_f32_e32 v139, 0x3ee1c552, v24
	v_fmac_f32_e32 v140, 0x3ee1c552, v24
	;; [unrolled: 1-line block ×4, first 2 shown]
	v_fma_f32 v14, v14, v120, -v113
	v_fmac_f32_e32 v46, v67, v124
	v_mul_f32_e32 v24, v10, v127
	v_mul_f32_e32 v34, v13, v129
	v_mul_f32_e32 v25, v11, v129
	v_mul_f32_e32 v27, v5, v133
	v_fma_f32 v31, v10, v126, -v29
	v_fmac_f32_e32 v23, v8, v130
	v_fma_f32 v37, v5, v132, -v37
	v_fma_f32 v39, v3, v136, -v39
	v_fmac_f32_e32 v30, v7, v136
	v_sub_f32_e32 v3, v85, v95
	v_sub_f32_e32 v5, v86, v92
	;; [unrolled: 1-line block ×3, first 2 shown]
	v_add_f32_e32 v8, v18, v21
	v_add_f32_e32 v10, v16, v19
	v_fmac_f32_e32 v28, v6, v134
	v_add_f32_e32 v6, v41, v42
	v_add_f32_e32 v67, v4, v2
	v_fmac_f32_e32 v24, v12, v126
	v_fma_f32 v29, v11, v128, -v34
	v_fmac_f32_e32 v25, v13, v128
	v_fmac_f32_e32 v27, v9, v132
	v_sub_f32_e32 v9, v17, v46
	v_sub_f32_e32 v11, v26, v40
	v_add_f32_e32 v12, v20, v14
	v_sub_f32_e32 v13, v35, v15
	v_add_f32_e32 v34, v139, v43
	v_add_f32_e32 v101, v7, v5
	v_sub_f32_e32 v102, v7, v5
	v_sub_f32_e32 v5, v5, v3
	v_add_f32_e32 v103, v10, v8
	v_add_f32_e32 v36, v141, v47
	v_sub_f32_e32 v63, v45, v140
	v_sub_f32_e32 v100, v4, v2
	;; [unrolled: 1-line block ×4, first 2 shown]
	v_add_f32_e32 v6, v6, v67
	v_add_f32_e32 v45, v140, v45
	v_sub_f32_e32 v47, v47, v141
	v_sub_f32_e32 v104, v10, v8
	;; [unrolled: 1-line block ×3, first 2 shown]
	v_add_f32_e32 v105, v13, v11
	v_sub_f32_e32 v106, v13, v11
	v_sub_f32_e32 v11, v11, v9
	;; [unrolled: 1-line block ×5, first 2 shown]
	ds_write2_b32 v66, v99, v34 offset1:45
	ds_write2_b32 v66, v36, v63 offset0:90 offset1:135
	ds_write2_b32 v66, v45, v47 offset0:180 offset1:225
	ds_write_b32 v66, v43 offset:1080
	v_mul_f32_e32 v36, 0xbf08b237, v102
	v_mul_f32_e32 v43, 0x3f5ff5aa, v5
	v_add_f32_e32 v12, v12, v103
	v_mul_f32_e32 v2, 0x3f4a47b2, v2
	v_add_f32_e32 v62, v62, v6
	v_sub_f32_e32 v13, v9, v13
	v_mul_f32_e32 v34, 0x3d64c772, v4
	v_mul_f32_e32 v45, 0x3d64c772, v10
	;; [unrolled: 1-line block ×4, first 2 shown]
	v_add_f32_e32 v3, v101, v3
	v_mul_f32_e32 v8, 0x3f4a47b2, v8
	v_fmamk_f32 v67, v7, 0x3eae86e6, v36
	v_fma_f32 v5, 0x3f5ff5aa, v5, -v36
	v_fma_f32 v7, 0xbeae86e6, v7, -v43
	v_add_f32_e32 v36, v61, v12
	v_fmamk_f32 v4, v4, 0x3d64c772, v2
	v_fmamk_f32 v6, v6, 0xbf955555, v62
	v_add_f32_e32 v9, v105, v9
	v_fma_f32 v34, 0x3f3bfb3b, v100, -v34
	v_fma_f32 v2, 0xbf3bfb3b, v100, -v2
	;; [unrolled: 1-line block ×3, first 2 shown]
	v_fmamk_f32 v45, v13, 0x3eae86e6, v47
	v_fma_f32 v11, 0x3f5ff5aa, v11, -v47
	v_fma_f32 v13, 0xbeae86e6, v13, -v63
	v_fmamk_f32 v10, v10, 0x3d64c772, v8
	v_fmac_f32_e32 v67, 0x3ee1c552, v3
	v_fmac_f32_e32 v5, 0x3ee1c552, v3
	;; [unrolled: 1-line block ×3, first 2 shown]
	v_fmamk_f32 v3, v12, 0xbf955555, v36
	v_fma_f32 v8, 0xbf3bfb3b, v104, -v8
	v_add_f32_e32 v4, v4, v6
	v_fmac_f32_e32 v45, 0x3ee1c552, v9
	v_fmac_f32_e32 v11, 0x3ee1c552, v9
	;; [unrolled: 1-line block ×3, first 2 shown]
	v_add_f32_e32 v9, v34, v6
	v_add_f32_e32 v2, v2, v6
	v_add_f32_e32 v6, v10, v3
	v_add_f32_e32 v10, v43, v3
	v_add_f32_e32 v3, v8, v3
	v_add_f32_e32 v8, v67, v4
	v_add_f32_e32 v12, v7, v2
	v_sub_f32_e32 v34, v9, v5
	v_add_f32_e32 v5, v5, v9
	v_sub_f32_e32 v2, v2, v7
	v_sub_f32_e32 v4, v4, v67
	v_add_f32_e32 v7, v45, v6
	v_add_f32_e32 v9, v13, v3
	v_sub_f32_e32 v43, v10, v11
	v_add_f32_e32 v10, v11, v10
	v_sub_f32_e32 v3, v3, v13
	v_sub_f32_e32 v6, v6, v45
	ds_write2_b32 v58, v62, v8 offset1:45
	ds_write2_b32 v58, v12, v34 offset0:90 offset1:135
	ds_write2_b32 v58, v5, v2 offset0:180 offset1:225
	ds_write_b32 v58, v4 offset:1080
	ds_write2_b32 v57, v36, v7 offset1:45
	ds_write2_b32 v57, v9, v43 offset0:90 offset1:135
	ds_write2_b32 v57, v10, v3 offset0:180 offset1:225
	ds_write_b32 v57, v6 offset:1080
	s_and_saveexec_b32 s1, s0
	s_cbranch_execz .LBB0_33
; %bb.32:
	v_add_f32_e32 v2, v31, v39
	v_add_f32_e32 v4, v29, v38
	;; [unrolled: 1-line block ×3, first 2 shown]
	v_sub_f32_e32 v5, v27, v23
	v_sub_f32_e32 v8, v25, v28
	;; [unrolled: 1-line block ×3, first 2 shown]
	v_add_f32_e32 v7, v4, v2
	v_sub_f32_e32 v6, v2, v3
	v_sub_f32_e32 v10, v3, v4
	;; [unrolled: 1-line block ×4, first 2 shown]
	v_add_f32_e32 v3, v3, v7
	v_sub_f32_e32 v7, v5, v8
	v_mul_f32_e32 v6, 0x3f4a47b2, v6
	v_mul_f32_e32 v12, 0x3d64c772, v10
	v_sub_f32_e32 v34, v9, v5
	v_add_f32_e32 v13, v59, v3
	v_add_f32_e32 v5, v5, v8
	v_mul_f32_e32 v4, 0x3f5ff5aa, v11
	v_mul_f32_e32 v7, 0xbf08b237, v7
	v_fmamk_f32 v10, v10, 0x3d64c772, v6
	v_fmamk_f32 v3, v3, 0xbf955555, v13
	v_add_f32_e32 v5, v5, v9
	v_fma_f32 v6, 0xbf3bfb3b, v2, -v6
	v_fma_f32 v4, 0xbeae86e6, v34, -v4
	;; [unrolled: 1-line block ×4, first 2 shown]
	v_fmamk_f32 v7, v34, 0x3eae86e6, v7
	v_add_f32_e32 v6, v6, v3
	v_fmac_f32_e32 v4, 0x3ee1c552, v5
	v_fmac_f32_e32 v8, 0x3ee1c552, v5
	v_add_f32_e32 v2, v2, v3
	v_add_f32_e32 v3, v10, v3
	v_fmac_f32_e32 v7, 0x3ee1c552, v5
	v_sub_f32_e32 v5, v6, v4
	v_add_f32_e32 v4, v4, v6
	v_add_nc_u32_e32 v10, 0x1200, v56
	v_sub_f32_e32 v9, v2, v8
	v_add_f32_e32 v6, v7, v3
	v_add_nc_u32_e32 v11, 0x1400, v56
	v_add_f32_e32 v2, v8, v2
	v_sub_f32_e32 v3, v3, v7
	ds_write2_b32 v10, v13, v6 offset0:108 offset1:153
	ds_write2_b32 v11, v4, v9 offset0:70 offset1:115
	;; [unrolled: 1-line block ×3, first 2 shown]
	ds_write_b32 v56, v3 offset:6120
.LBB0_33:
	s_or_b32 exec_lo, exec_lo, s1
	v_add_f32_e32 v2, v69, v94
	v_add_f32_e32 v3, v70, v88
	v_sub_f32_e32 v4, v90, v97
	v_add_f32_e32 v5, v68, v84
	v_sub_f32_e32 v6, v89, v96
	v_sub_f32_e32 v7, v93, v91
	v_add_f32_e32 v8, v3, v2
	v_sub_f32_e32 v9, v3, v2
	v_sub_f32_e32 v2, v2, v5
	v_sub_f32_e32 v3, v5, v3
	v_add_f32_e32 v10, v7, v6
	v_add_f32_e32 v5, v5, v8
	v_sub_f32_e32 v8, v7, v6
	v_sub_f32_e32 v6, v6, v4
	;; [unrolled: 1-line block ×3, first 2 shown]
	v_add_f32_e32 v4, v10, v4
	v_add_f32_e32 v32, v32, v5
	v_mul_f32_e32 v2, 0x3f4a47b2, v2
	v_mul_f32_e32 v10, 0x3d64c772, v3
	;; [unrolled: 1-line block ×4, first 2 shown]
	v_fmamk_f32 v5, v5, 0xbf955555, v32
	v_fmamk_f32 v3, v3, 0x3d64c772, v2
	v_fma_f32 v10, 0x3f3bfb3b, v9, -v10
	v_fma_f32 v2, 0xbf3bfb3b, v9, -v2
	v_fmamk_f32 v9, v7, 0x3eae86e6, v8
	v_fma_f32 v6, 0x3f5ff5aa, v6, -v8
	v_fma_f32 v7, 0xbeae86e6, v7, -v11
	v_add_f32_e32 v3, v3, v5
	v_add_f32_e32 v8, v10, v5
	v_add_f32_e32 v2, v2, v5
	v_fmac_f32_e32 v9, 0x3ee1c552, v4
	v_fmac_f32_e32 v7, 0x3ee1c552, v4
	;; [unrolled: 1-line block ×3, first 2 shown]
	v_add_f32_e32 v4, v85, v95
	v_add_f32_e32 v5, v86, v92
	v_sub_f32_e32 v10, v22, v44
	v_sub_f32_e32 v11, v42, v41
	v_add_f32_e32 v47, v6, v8
	v_sub_f32_e32 v59, v8, v6
	v_sub_f32_e32 v6, v98, v49
	v_add_f32_e32 v8, v48, v87
	v_add_f32_e32 v12, v5, v4
	v_sub_f32_e32 v13, v5, v4
	v_add_f32_e32 v22, v11, v10
	v_sub_f32_e32 v43, v3, v9
	v_sub_f32_e32 v4, v4, v8
	;; [unrolled: 1-line block ×3, first 2 shown]
	v_add_f32_e32 v8, v8, v12
	v_sub_f32_e32 v12, v11, v10
	v_sub_f32_e32 v10, v10, v6
	;; [unrolled: 1-line block ×3, first 2 shown]
	v_add_f32_e32 v6, v22, v6
	v_add_f32_e32 v41, v65, v8
	v_mul_f32_e32 v4, 0x3f4a47b2, v4
	v_mul_f32_e32 v22, 0x3d64c772, v5
	;; [unrolled: 1-line block ×4, first 2 shown]
	v_fmamk_f32 v8, v8, 0xbf955555, v41
	v_fmamk_f32 v5, v5, 0x3d64c772, v4
	v_fma_f32 v22, 0x3f3bfb3b, v13, -v22
	v_fma_f32 v4, 0xbf3bfb3b, v13, -v4
	v_fmamk_f32 v13, v11, 0x3eae86e6, v12
	v_fma_f32 v11, 0xbeae86e6, v11, -v34
	v_sub_f32_e32 v45, v2, v7
	v_fma_f32 v10, 0x3f5ff5aa, v10, -v12
	v_add_f32_e32 v4, v4, v8
	v_add_f32_e32 v42, v7, v2
	v_fmac_f32_e32 v11, 0x3ee1c552, v6
	v_add_f32_e32 v44, v9, v3
	v_add_f32_e32 v2, v17, v46
	;; [unrolled: 1-line block ×5, first 2 shown]
	v_fmac_f32_e32 v13, 0x3ee1c552, v6
	v_fmac_f32_e32 v10, 0x3ee1c552, v6
	v_sub_f32_e32 v49, v4, v11
	v_add_f32_e32 v63, v11, v4
	v_sub_f32_e32 v4, v18, v21
	v_add_f32_e32 v6, v15, v35
	v_sub_f32_e32 v7, v16, v19
	v_sub_f32_e32 v8, v14, v20
	v_add_f32_e32 v9, v3, v2
	v_add_f32_e32 v61, v10, v12
	v_sub_f32_e32 v62, v12, v10
	v_sub_f32_e32 v10, v3, v2
	;; [unrolled: 1-line block ×4, first 2 shown]
	v_add_f32_e32 v11, v8, v7
	v_add_f32_e32 v6, v6, v9
	v_sub_f32_e32 v9, v8, v7
	v_sub_f32_e32 v7, v7, v4
	;; [unrolled: 1-line block ×3, first 2 shown]
	v_add_f32_e32 v4, v11, v4
	v_add_f32_e32 v40, v64, v6
	v_mul_f32_e32 v2, 0x3f4a47b2, v2
	v_mul_f32_e32 v11, 0x3d64c772, v3
	;; [unrolled: 1-line block ×4, first 2 shown]
	v_fmamk_f32 v6, v6, 0xbf955555, v40
	v_fmamk_f32 v3, v3, 0x3d64c772, v2
	v_fma_f32 v11, 0x3f3bfb3b, v10, -v11
	v_fma_f32 v2, 0xbf3bfb3b, v10, -v2
	v_fmamk_f32 v46, v8, 0x3eae86e6, v9
	v_fma_f32 v64, 0xbeae86e6, v8, -v12
	v_fma_f32 v65, 0x3f5ff5aa, v7, -v9
	v_add_f32_e32 v67, v3, v6
	v_add_f32_e32 v68, v2, v6
	v_fmac_f32_e32 v46, 0x3ee1c552, v4
	v_fmac_f32_e32 v64, 0x3ee1c552, v4
	v_add_f32_e32 v70, v11, v6
	v_fmac_f32_e32 v65, 0x3ee1c552, v4
	v_add_nc_u32_e32 v4, 0xc00, v82
	v_add_nc_u32_e32 v6, 0x1200, v82
	;; [unrolled: 1-line block ×6, first 2 shown]
	v_sub_f32_e32 v48, v5, v13
	v_add_f32_e32 v69, v13, v5
	s_waitcnt lgkmcnt(0)
	s_barrier
	buffer_gl0_inv
	ds_read_b32 v34, v82
	ds_read2_b32 v[2:3], v2 offset0:118 offset1:181
	ds_read2_b32 v[4:5], v4 offset0:114 offset1:177
	;; [unrolled: 1-line block ×4, first 2 shown]
	v_add_nc_u32_e32 v8, 0x1400, v82
	ds_read2_b32 v[17:18], v9 offset0:112 offset1:175
	ds_read2_b32 v[12:13], v10 offset0:116 offset1:179
	v_add_nc_u32_e32 v9, 0x600, v82
	v_add_nc_u32_e32 v16, 0x1000, v82
	ds_read2_b32 v[19:20], v8 offset0:106 offset1:169
	ds_read_b32 v26, v52
	ds_read_b32 v22, v53
	ds_read2_b32 v[10:11], v9 offset0:120 offset1:183
	ds_read2_b32 v[8:9], v16 offset0:110 offset1:173
	ds_read_b32 v35, v55
	ds_read_b32 v16, v54
	;; [unrolled: 1-line block ×3, first 2 shown]
	ds_read_b32 v21, v82 offset:6048
	v_sub_f32_e32 v84, v67, v46
	v_sub_f32_e32 v85, v68, v64
	v_add_f32_e32 v86, v65, v70
	v_sub_f32_e32 v65, v70, v65
	v_add_f32_e32 v64, v64, v68
	v_add_f32_e32 v46, v46, v67
	s_waitcnt lgkmcnt(0)
	s_barrier
	buffer_gl0_inv
	ds_write2_b32 v66, v32, v43 offset1:45
	ds_write2_b32 v66, v45, v47 offset0:90 offset1:135
	ds_write2_b32 v66, v59, v42 offset0:180 offset1:225
	ds_write_b32 v66, v44 offset:1080
	ds_write2_b32 v58, v41, v48 offset1:45
	ds_write2_b32 v58, v49, v61 offset0:90 offset1:135
	ds_write2_b32 v58, v62, v63 offset0:180 offset1:225
	ds_write_b32 v58, v69 offset:1080
	;; [unrolled: 4-line block ×3, first 2 shown]
	s_and_saveexec_b32 s1, s0
	s_cbranch_execz .LBB0_35
; %bb.34:
	v_add_f32_e32 v24, v24, v30
	v_add_f32_e32 v25, v25, v28
	v_add_f32_e32 v23, v23, v27
	v_sub_f32_e32 v27, v29, v38
	v_sub_f32_e32 v29, v37, v33
	;; [unrolled: 1-line block ×3, first 2 shown]
	v_add_f32_e32 v30, v25, v24
	v_sub_f32_e32 v31, v25, v24
	v_sub_f32_e32 v24, v24, v23
	;; [unrolled: 1-line block ×3, first 2 shown]
	v_add_f32_e32 v32, v29, v27
	v_add_f32_e32 v23, v23, v30
	v_sub_f32_e32 v30, v29, v27
	v_sub_f32_e32 v27, v27, v28
	;; [unrolled: 1-line block ×3, first 2 shown]
	v_add_f32_e32 v28, v32, v28
	v_add_f32_e32 v32, v60, v23
	v_mul_f32_e32 v24, 0x3f4a47b2, v24
	v_mul_f32_e32 v33, 0x3d64c772, v25
	;; [unrolled: 1-line block ×4, first 2 shown]
	v_fmamk_f32 v23, v23, 0xbf955555, v32
	v_fmamk_f32 v25, v25, 0x3d64c772, v24
	v_fma_f32 v33, 0x3f3bfb3b, v31, -v33
	v_fma_f32 v24, 0xbf3bfb3b, v31, -v24
	v_fmamk_f32 v31, v29, 0x3eae86e6, v30
	v_fma_f32 v27, 0x3f5ff5aa, v27, -v30
	v_fma_f32 v29, 0xbeae86e6, v29, -v37
	v_add_f32_e32 v25, v25, v23
	v_add_f32_e32 v30, v33, v23
	v_fmac_f32_e32 v31, 0x3ee1c552, v28
	v_fmac_f32_e32 v27, 0x3ee1c552, v28
	v_add_f32_e32 v23, v24, v23
	v_fmac_f32_e32 v29, 0x3ee1c552, v28
	v_add_nc_u32_e32 v37, 0x1400, v56
	v_sub_f32_e32 v24, v25, v31
	v_add_f32_e32 v33, v27, v30
	v_sub_f32_e32 v27, v30, v27
	v_add_nc_u32_e32 v30, 0x1200, v56
	v_sub_f32_e32 v28, v23, v29
	v_add_f32_e32 v23, v29, v23
	v_add_f32_e32 v25, v31, v25
	ds_write2_b32 v30, v32, v24 offset0:108 offset1:153
	ds_write2_b32 v37, v28, v33 offset0:70 offset1:115
	;; [unrolled: 1-line block ×3, first 2 shown]
	ds_write_b32 v56, v25 offset:6120
.LBB0_35:
	s_or_b32 exec_lo, exec_lo, s1
	s_waitcnt lgkmcnt(0)
	s_barrier
	buffer_gl0_inv
	s_and_saveexec_b32 s0, vcc_lo
	s_cbranch_execz .LBB0_37
; %bb.36:
	v_lshlrev_b32_e32 v23, 2, v83
	v_mov_b32_e32 v24, 0
	v_add_nc_u32_e32 v95, 0x800, v82
	v_add_nc_u32_e32 v97, 0x1200, v82
	;; [unrolled: 1-line block ×4, first 2 shown]
	v_lshlrev_b64 v[27:28], 3, v[23:24]
	v_lshlrev_b32_e32 v23, 2, v81
	v_add_nc_u32_e32 v81, 0xe00, v82
	v_lshlrev_b64 v[41:42], 3, v[23:24]
	v_add_co_u32 v25, vcc_lo, s8, v27
	v_add_co_ci_u32_e32 v29, vcc_lo, s9, v28, vcc_lo
	v_add_co_u32 v27, vcc_lo, 0x800, v25
	v_add_co_ci_u32_e32 v28, vcc_lo, 0, v29, vcc_lo
	v_add_co_u32 v31, vcc_lo, 0x9c0, v25
	v_add_co_ci_u32_e32 v32, vcc_lo, 0, v29, vcc_lo
	v_add_co_u32 v23, vcc_lo, s8, v41
	v_add_co_ci_u32_e32 v25, vcc_lo, s9, v42, vcc_lo
	s_clause 0x1
	global_load_dwordx4 v[27:30], v[27:28], off offset:448
	global_load_dwordx4 v[37:40], v[31:32], off offset:16
	v_add_co_u32 v31, vcc_lo, 0x800, v23
	v_add_co_ci_u32_e32 v32, vcc_lo, 0, v25, vcc_lo
	v_add_co_u32 v45, vcc_lo, 0x9c0, v23
	v_lshlrev_b32_e32 v23, 2, v80
	v_add_co_ci_u32_e32 v46, vcc_lo, 0, v25, vcc_lo
	s_clause 0x1
	global_load_dwordx4 v[41:44], v[31:32], off offset:448
	global_load_dwordx4 v[45:48], v[45:46], off offset:16
	v_lshlrev_b64 v[31:32], 3, v[23:24]
	v_add_co_u32 v23, vcc_lo, s8, v31
	v_add_co_ci_u32_e32 v25, vcc_lo, s9, v32, vcc_lo
	v_add_co_u32 v31, vcc_lo, 0x800, v23
	v_add_co_ci_u32_e32 v32, vcc_lo, 0, v25, vcc_lo
	v_add_co_u32 v60, vcc_lo, 0x9c0, v23
	v_lshlrev_b32_e32 v23, 2, v79
	v_add_co_ci_u32_e32 v61, vcc_lo, 0, v25, vcc_lo
	s_clause 0x1
	global_load_dwordx4 v[56:59], v[31:32], off offset:448
	global_load_dwordx4 v[60:63], v[60:61], off offset:16
	v_lshlrev_b64 v[31:32], 3, v[23:24]
	v_add_co_u32 v23, vcc_lo, s8, v31
	v_add_co_ci_u32_e32 v25, vcc_lo, s9, v32, vcc_lo
	v_add_co_u32 v31, vcc_lo, 0x800, v23
	v_add_co_ci_u32_e32 v32, vcc_lo, 0, v25, vcc_lo
	;; [unrolled: 2-line block ×3, first 2 shown]
	s_clause 0x1
	global_load_dwordx4 v[64:67], v[31:32], off offset:448
	global_load_dwordx4 v[83:86], v[68:69], off offset:16
	v_lshlrev_b32_e32 v23, 2, v72
	v_lshlrev_b64 v[23:24], 3, v[23:24]
	v_add_co_u32 v25, vcc_lo, s8, v23
	v_add_co_ci_u32_e32 v32, vcc_lo, s9, v24, vcc_lo
	v_add_co_u32 v23, vcc_lo, 0x800, v25
	v_add_co_ci_u32_e32 v24, vcc_lo, 0, v32, vcc_lo
	v_add_co_u32 v31, vcc_lo, 0x9c0, v25
	v_add_co_ci_u32_e32 v32, vcc_lo, 0, v32, vcc_lo
	s_clause 0x1
	global_load_dwordx4 v[87:90], v[23:24], off offset:448
	global_load_dwordx4 v[91:94], v[31:32], off offset:16
	v_add_nc_u32_e32 v23, 0xc00, v82
	v_add_nc_u32_e32 v24, 0x600, v82
	;; [unrolled: 1-line block ×3, first 2 shown]
	ds_read_b32 v33, v82 offset:6048
	ds_read2_b32 v[68:69], v23 offset0:114 offset1:177
	ds_read2_b32 v[23:24], v24 offset0:120 offset1:183
	ds_read2_b32 v[31:32], v25 offset0:110 offset1:173
	v_add_nc_u32_e32 v25, 0x1400, v82
	ds_read_b32 v55, v55
	ds_read_b32 v99, v54
	;; [unrolled: 1-line block ×6, first 2 shown]
	ds_read2_b32 v[51:52], v49 offset0:116 offset1:179
	ds_read2_b32 v[53:54], v25 offset0:106 offset1:169
	;; [unrolled: 1-line block ×6, first 2 shown]
	s_waitcnt vmcnt(9) lgkmcnt(14)
	v_mul_f32_e32 v25, v29, v68
	s_waitcnt lgkmcnt(13)
	v_mul_f32_e32 v49, v27, v24
	s_waitcnt vmcnt(8) lgkmcnt(12)
	v_mul_f32_e32 v70, v37, v32
	v_mul_f32_e32 v104, v39, v33
	;; [unrolled: 1-line block ×6, first 2 shown]
	v_fmac_f32_e32 v25, v4, v30
	v_fmac_f32_e32 v49, v11, v28
	;; [unrolled: 1-line block ×4, first 2 shown]
	v_fma_f32 v11, v11, v27, -v24
	v_fma_f32 v24, v21, v39, -v33
	;; [unrolled: 1-line block ×4, first 2 shown]
	s_waitcnt vmcnt(7) lgkmcnt(5)
	v_mul_f32_e32 v27, v43, v52
	v_mul_f32_e32 v28, v41, v23
	s_waitcnt vmcnt(6)
	v_mul_f32_e32 v29, v45, v31
	s_waitcnt lgkmcnt(4)
	v_mul_f32_e32 v30, v47, v54
	v_mul_f32_e32 v9, v42, v23
	;; [unrolled: 1-line block ×5, first 2 shown]
	v_sub_f32_e32 v33, v25, v49
	v_sub_f32_e32 v37, v70, v104
	v_add_f32_e32 v39, v49, v104
	v_sub_f32_e32 v52, v4, v11
	v_sub_f32_e32 v54, v21, v24
	v_add_f32_e32 v68, v11, v24
	v_sub_f32_e32 v106, v49, v104
	v_sub_f32_e32 v107, v49, v25
	;; [unrolled: 1-line block ×3, first 2 shown]
	v_add_f32_e32 v109, v25, v70
	v_sub_f32_e32 v110, v11, v4
	v_sub_f32_e32 v111, v24, v21
	v_add_f32_e32 v49, v49, v99
	v_add_f32_e32 v113, v16, v11
	v_fmac_f32_e32 v27, v13, v44
	v_fmac_f32_e32 v28, v10, v42
	;; [unrolled: 1-line block ×4, first 2 shown]
	v_fma_f32 v41, v10, v41, -v9
	v_fma_f32 v42, v20, v47, -v23
	;; [unrolled: 1-line block ×4, first 2 shown]
	s_waitcnt vmcnt(5) lgkmcnt(3)
	v_mul_f32_e32 v32, v56, v80
	v_mul_f32_e32 v43, v58, v51
	s_waitcnt vmcnt(4)
	v_mul_f32_e32 v44, v62, v53
	s_waitcnt lgkmcnt(2)
	v_mul_f32_e32 v45, v60, v82
	v_mul_f32_e32 v13, v59, v51
	;; [unrolled: 1-line block ×4, first 2 shown]
	v_sub_f32_e32 v38, v11, v24
	v_sub_f32_e32 v40, v4, v21
	;; [unrolled: 1-line block ×3, first 2 shown]
	v_add_f32_e32 v112, v4, v21
	v_mul_f32_e32 v20, v61, v82
	v_add_f32_e32 v37, v33, v37
	v_fma_f32 v11, -0.5, v39, v99
	v_add_f32_e32 v39, v52, v54
	v_fma_f32 v10, -0.5, v68, v16
	;; [unrolled: 2-line block ×3, first 2 shown]
	v_add_f32_e32 v51, v110, v111
	v_add_f32_e32 v25, v25, v49
	;; [unrolled: 1-line block ×3, first 2 shown]
	v_sub_f32_e32 v33, v27, v28
	v_sub_f32_e32 v49, v29, v30
	;; [unrolled: 1-line block ×3, first 2 shown]
	v_add_f32_e32 v53, v28, v30
	v_sub_f32_e32 v68, v23, v41
	v_add_f32_e32 v82, v41, v42
	v_sub_f32_e32 v107, v28, v30
	v_sub_f32_e32 v108, v28, v27
	v_add_f32_e32 v110, v27, v29
	v_sub_f32_e32 v111, v41, v23
	v_add_f32_e32 v28, v28, v100
	v_add_f32_e32 v41, v22, v41
	v_fmac_f32_e32 v32, v15, v57
	v_fmac_f32_e32 v43, v12, v59
	;; [unrolled: 1-line block ×4, first 2 shown]
	v_fma_f32 v57, v12, v58, -v13
	v_fma_f32 v46, v15, v56, -v46
	;; [unrolled: 1-line block ×3, first 2 shown]
	s_waitcnt vmcnt(2)
	v_mul_f32_e32 v61, v83, v81
	s_waitcnt lgkmcnt(1)
	v_mul_f32_e32 v62, v67, v96
	v_mul_f32_e32 v63, v84, v81
	v_fma_f32 v8, -0.5, v112, v16
	v_sub_f32_e32 v99, v27, v29
	v_fma_f32 v58, v18, v60, -v20
	v_mul_f32_e32 v56, v64, v79
	v_mul_f32_e32 v59, v66, v96
	s_waitcnt lgkmcnt(0)
	v_mul_f32_e32 v60, v85, v98
	v_mul_f32_e32 v79, v65, v79
	;; [unrolled: 1-line block ×3, first 2 shown]
	v_fmamk_f32 v12, v105, 0x3f737871, v10
	v_fmac_f32_e32 v10, 0xbf737871, v105
	v_fmamk_f32 v16, v38, 0xbf737871, v9
	v_fmac_f32_e32 v9, 0x3f737871, v38
	v_add_f32_e32 v25, v70, v25
	v_add_f32_e32 v70, v4, v21
	;; [unrolled: 1-line block ×3, first 2 shown]
	v_fma_f32 v21, -0.5, v53, v100
	v_fma_f32 v19, -0.5, v110, v100
	v_add_f32_e32 v27, v27, v28
	v_add_f32_e32 v28, v23, v41
	v_sub_f32_e32 v33, v32, v43
	v_sub_f32_e32 v41, v44, v45
	;; [unrolled: 1-line block ×4, first 2 shown]
	v_add_f32_e32 v115, v32, v101
	v_sub_f32_e32 v116, v57, v46
	v_add_f32_e32 v118, v46, v47
	v_add_f32_e32 v46, v26, v46
	v_fmac_f32_e32 v61, v17, v84
	v_fma_f32 v62, v3, v66, -v62
	v_fma_f32 v17, v17, v83, -v63
	v_sub_f32_e32 v80, v31, v42
	v_sub_f32_e32 v109, v30, v29
	;; [unrolled: 1-line block ×3, first 2 shown]
	v_add_f32_e32 v113, v23, v31
	v_fmamk_f32 v13, v40, 0xbf737871, v11
	v_fmac_f32_e32 v11, 0x3f737871, v40
	v_fmamk_f32 v15, v106, 0x3f737871, v8
	v_fmac_f32_e32 v8, 0xbf737871, v106
	v_add_f32_e32 v98, v43, v45
	v_fmac_f32_e32 v56, v14, v65
	v_fmac_f32_e32 v59, v3, v67
	;; [unrolled: 1-line block ×3, first 2 shown]
	v_fma_f32 v14, v14, v64, -v79
	v_fma_f32 v63, v7, v85, -v81
	v_fmac_f32_e32 v12, 0xbf167918, v106
	v_fmac_f32_e32 v10, 0x3f167918, v106
	;; [unrolled: 1-line block ×4, first 2 shown]
	v_add_f32_e32 v7, v29, v27
	v_add_f32_e32 v64, v33, v41
	;; [unrolled: 1-line block ×5, first 2 shown]
	v_sub_f32_e32 v54, v23, v31
	v_add_f32_e32 v53, v68, v80
	v_fma_f32 v20, -0.5, v82, v22
	v_add_f32_e32 v68, v108, v109
	v_add_f32_e32 v80, v111, v112
	v_fma_f32 v18, -0.5, v113, v22
	v_add_f32_e32 v109, v57, v58
	v_sub_f32_e32 v111, v43, v45
	v_sub_f32_e32 v112, v43, v32
	;; [unrolled: 1-line block ×3, first 2 shown]
	v_add_f32_e32 v114, v32, v44
	v_fmac_f32_e32 v15, 0x3f167918, v105
	v_fmac_f32_e32 v8, 0xbf167918, v105
	v_add_f32_e32 v31, v28, v31
	v_fma_f32 v33, -0.5, v98, v101
	v_sub_f32_e32 v43, v56, v59
	v_sub_f32_e32 v46, v60, v61
	v_add_f32_e32 v79, v59, v61
	v_sub_f32_e32 v85, v56, v60
	v_fmac_f32_e32 v12, 0x3e9e377a, v39
	v_fmac_f32_e32 v10, 0x3e9e377a, v39
	v_add_f32_e32 v27, v30, v7
	v_add_f32_e32 v7, v45, v40
	;; [unrolled: 1-line block ×3, first 2 shown]
	v_fma_f32 v39, -0.5, v84, v36
	v_sub_f32_e32 v82, v57, v58
	v_sub_f32_e32 v110, v32, v44
	v_add_f32_e32 v4, v104, v25
	v_add_f32_e32 v3, v70, v24
	v_fmamk_f32 v23, v54, 0xbf737871, v21
	v_fmamk_f32 v22, v99, 0x3f737871, v20
	v_fmac_f32_e32 v21, 0x3f737871, v54
	v_fmac_f32_e32 v20, 0xbf737871, v99
	v_fma_f32 v32, -0.5, v109, v26
	v_fma_f32 v29, -0.5, v114, v101
	;; [unrolled: 1-line block ×3, first 2 shown]
	v_sub_f32_e32 v70, v14, v63
	v_sub_f32_e32 v81, v14, v62
	;; [unrolled: 1-line block ×4, first 2 shown]
	v_add_f32_e32 v101, v56, v60
	v_sub_f32_e32 v104, v62, v14
	v_add_f32_e32 v106, v14, v63
	v_add_f32_e32 v14, v36, v14
	v_fmac_f32_e32 v15, 0x3e9e377a, v51
	v_fmac_f32_e32 v8, 0x3e9e377a, v51
	v_add_f32_e32 v26, v31, v42
	v_fmamk_f32 v31, v96, 0x3f737871, v33
	v_fmac_f32_e32 v33, 0xbf737871, v96
	v_add_f32_e32 v51, v43, v46
	v_fma_f32 v40, -0.5, v79, v102
	v_add_f32_e32 v43, v47, v45
	v_fmamk_f32 v45, v85, 0xbf737871, v39
	v_fmac_f32_e32 v39, 0x3f737871, v85
	v_fmamk_f32 v25, v52, 0xbf737871, v19
	v_fmac_f32_e32 v19, 0x3f737871, v52
	v_sub_f32_e32 v57, v62, v17
	v_sub_f32_e32 v98, v59, v56
	v_add_f32_e32 v56, v56, v102
	v_fmac_f32_e32 v23, 0x3f167918, v52
	v_fmac_f32_e32 v22, 0xbf167918, v107
	;; [unrolled: 1-line block ×4, first 2 shown]
	v_add_f32_e32 v52, v81, v83
	v_fma_f32 v42, -0.5, v101, v102
	v_fma_f32 v41, -0.5, v106, v36
	v_fmac_f32_e32 v31, 0x3f167918, v82
	v_fmac_f32_e32 v33, 0xbf167918, v82
	v_fmamk_f32 v46, v70, 0x3f737871, v40
	v_fmac_f32_e32 v40, 0xbf737871, v70
	v_fmac_f32_e32 v45, 0xbf167918, v86
	;; [unrolled: 1-line block ×3, first 2 shown]
	v_add_f32_e32 v14, v14, v62
	v_sub_f32_e32 v108, v47, v58
	v_sub_f32_e32 v117, v58, v47
	;; [unrolled: 1-line block ×3, first 2 shown]
	v_fmac_f32_e32 v16, 0x3e9e377a, v48
	v_fmac_f32_e32 v9, 0x3e9e377a, v48
	v_fmamk_f32 v30, v110, 0xbf737871, v32
	v_fmac_f32_e32 v32, 0x3f737871, v110
	v_add_f32_e32 v36, v59, v56
	v_fmac_f32_e32 v23, 0x3e9e377a, v49
	v_fmac_f32_e32 v22, 0x3e9e377a, v53
	;; [unrolled: 1-line block ×4, first 2 shown]
	v_fmamk_f32 v48, v57, 0xbf737871, v42
	v_fmamk_f32 v47, v86, 0x3f737871, v41
	v_fmac_f32_e32 v42, 0x3f737871, v57
	v_fmac_f32_e32 v41, 0xbf737871, v86
	;; [unrolled: 1-line block ×7, first 2 shown]
	s_waitcnt vmcnt(1)
	v_mul_f32_e32 v49, v87, v55
	v_fmac_f32_e32 v39, 0x3e9e377a, v52
	v_mul_f32_e32 v57, v89, v95
	s_waitcnt vmcnt(0)
	v_mul_f32_e32 v64, v93, v97
	v_add_f32_e32 v14, v14, v17
	v_mul_f32_e32 v17, v91, v69
	v_mul_f32_e32 v52, v90, v95
	;; [unrolled: 1-line block ×3, first 2 shown]
	v_fmac_f32_e32 v13, 0x3f167918, v38
	v_fmac_f32_e32 v11, 0xbf167918, v38
	v_add_f32_e32 v65, v100, v108
	v_add_f32_e32 v58, v104, v105
	v_fmac_f32_e32 v30, 0xbf167918, v111
	v_fmac_f32_e32 v32, 0x3f167918, v111
	v_add_f32_e32 v44, v44, v7
	v_add_f32_e32 v7, v61, v36
	v_fmac_f32_e32 v47, 0xbf167918, v85
	v_fmac_f32_e32 v41, 0x3f167918, v85
	;; [unrolled: 1-line block ×7, first 2 shown]
	v_mul_f32_e32 v36, v88, v55
	v_mul_f32_e32 v51, v94, v97
	v_fmac_f32_e32 v17, v5, v92
	v_fma_f32 v2, v2, v89, -v52
	v_fma_f32 v5, v5, v91, -v53
	v_fmac_f32_e32 v13, 0x3e9e377a, v37
	v_fmac_f32_e32 v11, 0x3e9e377a, v37
	v_fmamk_f32 v37, v111, 0x3f737871, v28
	v_fmac_f32_e32 v28, 0xbf737871, v111
	v_fmac_f32_e32 v30, 0x3e9e377a, v65
	;; [unrolled: 1-line block ×5, first 2 shown]
	v_fma_f32 v58, v35, v87, -v36
	v_fma_f32 v65, v6, v93, -v51
	v_sub_f32_e32 v35, v49, v57
	v_sub_f32_e32 v51, v64, v17
	v_add_f32_e32 v53, v2, v5
	v_add_f32_e32 v67, v116, v117
	v_fmac_f32_e32 v37, 0xbf167918, v110
	v_fmac_f32_e32 v28, 0x3f167918, v110
	v_add_f32_e32 v59, v35, v51
	v_fma_f32 v35, -0.5, v53, v34
	v_sub_f32_e32 v53, v58, v2
	v_sub_f32_e32 v55, v65, v5
	v_add_f32_e32 v6, v57, v17
	v_fmamk_f32 v38, v82, 0xbf737871, v29
	v_fmac_f32_e32 v29, 0x3f737871, v82
	v_sub_f32_e32 v100, v61, v60
	v_fmac_f32_e32 v37, 0x3e9e377a, v67
	v_fmac_f32_e32 v28, 0x3e9e377a, v67
	v_add_f32_e32 v67, v53, v55
	v_add_f32_e32 v53, v58, v65
	v_fma_f32 v36, -0.5, v6, v103
	v_add_f32_e32 v6, v63, v14
	v_add_f32_e32 v51, v49, v64
	v_sub_f32_e32 v63, v49, v64
	v_sub_f32_e32 v62, v57, v49
	v_add_f32_e32 v49, v49, v103
	v_add_f32_e32 v66, v112, v113
	v_fmac_f32_e32 v38, 0x3f167918, v96
	v_fmac_f32_e32 v29, 0xbf167918, v96
	v_sub_f32_e32 v61, v58, v65
	v_fmac_f32_e32 v25, 0xbf167918, v54
	v_fmac_f32_e32 v19, 0x3f167918, v54
	v_add_f32_e32 v54, v98, v100
	v_fmac_f32_e32 v48, 0x3f167918, v70
	v_fmac_f32_e32 v42, 0xbf167918, v70
	v_fma_f32 v53, -0.5, v53, v34
	v_add_f32_e32 v34, v34, v58
	v_add_f32_e32 v7, v60, v7
	v_sub_f32_e32 v60, v57, v17
	v_sub_f32_e32 v55, v2, v58
	v_add_f32_e32 v49, v57, v49
	v_mad_u64_u32 v[57:58], null, s2, v72, 0
	v_fmac_f32_e32 v38, 0x3e9e377a, v66
	v_fmac_f32_e32 v29, 0x3e9e377a, v66
	v_sub_f32_e32 v14, v2, v5
	v_fmamk_f32 v52, v61, 0x3f737871, v36
	v_sub_f32_e32 v66, v17, v64
	v_fmac_f32_e32 v36, 0xbf737871, v61
	v_fmac_f32_e32 v48, 0x3e9e377a, v54
	;; [unrolled: 1-line block ×3, first 2 shown]
	v_fma_f32 v54, -0.5, v51, v103
	v_add_f32_e32 v2, v34, v2
	v_fmac_f32_e32 v52, 0x3f167918, v14
	v_fmamk_f32 v51, v63, 0xbf737871, v35
	v_add_f32_e32 v66, v62, v66
	v_sub_f32_e32 v62, v5, v65
	v_fmac_f32_e32 v35, 0x3f737871, v63
	v_fmac_f32_e32 v36, 0xbf167918, v14
	v_fmamk_f32 v56, v14, 0x3f737871, v54
	v_add_f32_e32 v5, v2, v5
	v_fmac_f32_e32 v54, 0xbf737871, v14
	v_mov_b32_e32 v2, v58
	v_fmac_f32_e32 v25, 0x3e9e377a, v68
	v_fmac_f32_e32 v19, 0x3e9e377a, v68
	;; [unrolled: 1-line block ×4, first 2 shown]
	v_add_f32_e32 v68, v55, v62
	v_fmamk_f32 v55, v60, 0xbf737871, v53
	v_fmac_f32_e32 v35, 0x3f167918, v60
	v_fmac_f32_e32 v36, 0x3e9e377a, v59
	;; [unrolled: 1-line block ×3, first 2 shown]
	v_mad_u64_u32 v[59:60], null, s2, v78, 0
	v_fmac_f32_e32 v56, 0xbf167918, v61
	v_fmac_f32_e32 v54, 0x3f167918, v61
	v_mad_u64_u32 v[61:62], null, s3, v72, v[2:3]
	v_add_f32_e32 v17, v17, v49
	v_add_f32_e32 v62, v65, v5
	v_add_nc_u32_e32 v5, 0x276, v72
	v_fmac_f32_e32 v55, 0x3f167918, v63
	v_fmac_f32_e32 v53, 0xbf167918, v63
	v_add_f32_e32 v63, v64, v17
	v_mov_b32_e32 v2, v60
	v_mad_u64_u32 v[64:65], null, s2, v5, 0
	v_mov_b32_e32 v58, v61
	v_add_nc_u32_e32 v17, 0x3b1, v72
	v_mad_u64_u32 v[60:61], null, s3, v78, v[2:3]
	v_add_co_u32 v14, vcc_lo, s12, v0
	v_mov_b32_e32 v2, v65
	v_add_co_ci_u32_e32 v49, vcc_lo, s13, v1, vcc_lo
	v_lshlrev_b64 v[0:1], 3, v[57:58]
	v_mad_u64_u32 v[57:58], null, s2, v17, 0
	v_add_nc_u32_e32 v34, 0x4ec, v72
	v_fmac_f32_e32 v56, 0x3e9e377a, v66
	v_fmac_f32_e32 v54, 0x3e9e377a, v66
	v_mad_u64_u32 v[65:66], null, s3, v5, v[2:3]
	v_fmac_f32_e32 v51, 0x3e9e377a, v67
	v_fmac_f32_e32 v35, 0x3e9e377a, v67
	v_lshlrev_b64 v[59:60], 3, v[59:60]
	v_mad_u64_u32 v[66:67], null, s2, v34, 0
	v_add_co_u32 v0, vcc_lo, v14, v0
	v_mov_b32_e32 v2, v58
	v_add_co_ci_u32_e32 v1, vcc_lo, v49, v1, vcc_lo
	v_add_co_u32 v58, vcc_lo, v14, v59
	v_add_co_ci_u32_e32 v59, vcc_lo, v49, v60, vcc_lo
	v_mad_u64_u32 v[60:61], null, s3, v17, v[2:3]
	v_mov_b32_e32 v2, v67
	global_store_dwordx2 v[0:1], v[62:63], off
	global_store_dwordx2 v[58:59], v[35:36], off
	v_lshlrev_b64 v[0:1], 3, v[64:65]
	v_add_nc_u32_e32 v5, 0x2b5, v72
	v_fmac_f32_e32 v55, 0x3e9e377a, v68
	v_mad_u64_u32 v[34:35], null, s3, v34, v[2:3]
	v_mad_u64_u32 v[35:36], null, s2, v77, 0
	v_mov_b32_e32 v58, v60
	v_mad_u64_u32 v[59:60], null, s2, v76, 0
	v_add_co_u32 v0, vcc_lo, v14, v0
	v_mov_b32_e32 v67, v34
	v_mov_b32_e32 v2, v36
	v_lshlrev_b64 v[57:58], 3, v[57:58]
	v_add_co_ci_u32_e32 v1, vcc_lo, v49, v1, vcc_lo
	v_lshlrev_b64 v[61:62], 3, v[66:67]
	v_mad_u64_u32 v[63:64], null, s3, v77, v[2:3]
	v_mov_b32_e32 v2, v60
	v_add_co_u32 v57, vcc_lo, v14, v57
	v_add_co_ci_u32_e32 v58, vcc_lo, v49, v58, vcc_lo
	v_mad_u64_u32 v[64:65], null, s3, v76, v[2:3]
	v_mad_u64_u32 v[65:66], null, s2, v5, 0
	v_add_co_u32 v60, vcc_lo, v14, v61
	v_mov_b32_e32 v36, v63
	v_add_nc_u32_e32 v17, 0x3f0, v72
	v_fmac_f32_e32 v53, 0x3e9e377a, v68
	v_add_co_ci_u32_e32 v61, vcc_lo, v49, v62, vcc_lo
	v_mov_b32_e32 v2, v66
	global_store_dwordx2 v[0:1], v[55:56], off
	global_store_dwordx2 v[57:58], v[53:54], off
	;; [unrolled: 1-line block ×3, first 2 shown]
	v_lshlrev_b64 v[0:1], 3, v[35:36]
	v_mov_b32_e32 v60, v64
	v_mad_u64_u32 v[34:35], null, s2, v17, 0
	v_add_nc_u32_e32 v56, 0x52b, v72
	v_mad_u64_u32 v[53:54], null, s3, v5, v[2:3]
	v_lshlrev_b64 v[51:52], 3, v[59:60]
	v_add_co_u32 v0, vcc_lo, v14, v0
	v_mad_u64_u32 v[54:55], null, s2, v56, 0
	v_mov_b32_e32 v2, v35
	v_add_co_ci_u32_e32 v1, vcc_lo, v49, v1, vcc_lo
	v_add_co_u32 v35, vcc_lo, v14, v51
	v_add_co_ci_u32_e32 v36, vcc_lo, v49, v52, vcc_lo
	v_mad_u64_u32 v[51:52], null, s3, v17, v[2:3]
	v_mov_b32_e32 v2, v55
	global_store_dwordx2 v[0:1], v[6:7], off
	global_store_dwordx2 v[35:36], v[39:40], off
	v_mov_b32_e32 v66, v53
	v_mad_u64_u32 v[39:40], null, s2, v74, 0
	v_mad_u64_u32 v[5:6], null, s3, v56, v[2:3]
	;; [unrolled: 1-line block ×3, first 2 shown]
	v_mov_b32_e32 v35, v51
	v_lshlrev_b64 v[0:1], 3, v[65:66]
	v_add_nc_u32_e32 v17, 0x2f4, v72
	v_add_nc_u32_e32 v36, 0x42f, v72
	v_mov_b32_e32 v55, v5
	v_lshlrev_b64 v[34:35], 3, v[34:35]
	v_mov_b32_e32 v2, v7
	v_add_co_u32 v0, vcc_lo, v14, v0
	v_lshlrev_b64 v[51:52], 3, v[54:55]
	v_add_co_ci_u32_e32 v1, vcc_lo, v49, v1, vcc_lo
	v_mad_u64_u32 v[53:54], null, s3, v75, v[2:3]
	v_mov_b32_e32 v2, v40
	v_add_co_u32 v34, vcc_lo, v14, v34
	v_add_co_ci_u32_e32 v35, vcc_lo, v49, v35, vcc_lo
	v_mad_u64_u32 v[54:55], null, s3, v74, v[2:3]
	v_mad_u64_u32 v[55:56], null, s2, v17, 0
	v_add_co_u32 v51, vcc_lo, v14, v51
	v_mov_b32_e32 v7, v53
	v_add_co_ci_u32_e32 v52, vcc_lo, v49, v52, vcc_lo
	global_store_dwordx2 v[0:1], v[41:42], off
	global_store_dwordx2 v[34:35], v[47:48], off
	;; [unrolled: 1-line block ×3, first 2 shown]
	v_lshlrev_b64 v[0:1], 3, v[6:7]
	v_mov_b32_e32 v40, v54
	v_mov_b32_e32 v2, v56
	v_mad_u64_u32 v[5:6], null, s2, v36, 0
	v_add_nc_u32_e32 v42, 0x56a, v72
	v_lshlrev_b64 v[34:35], 3, v[39:40]
	v_mad_u64_u32 v[39:40], null, s3, v17, v[2:3]
	v_add_co_u32 v0, vcc_lo, v14, v0
	v_mad_u64_u32 v[40:41], null, s2, v42, 0
	v_mov_b32_e32 v2, v6
	v_add_co_ci_u32_e32 v1, vcc_lo, v49, v1, vcc_lo
	v_add_co_u32 v6, vcc_lo, v14, v34
	v_add_co_ci_u32_e32 v7, vcc_lo, v49, v35, vcc_lo
	v_mad_u64_u32 v[34:35], null, s3, v36, v[2:3]
	v_mov_b32_e32 v2, v41
	v_mov_b32_e32 v56, v39
	global_store_dwordx2 v[0:1], v[43:44], off
	global_store_dwordx2 v[6:7], v[32:33], off
	v_mad_u64_u32 v[35:36], null, s2, v73, 0
	v_mad_u64_u32 v[32:33], null, s3, v42, v[2:3]
	v_mov_b32_e32 v6, v34
	v_lshlrev_b64 v[0:1], 3, v[55:56]
	v_add_nc_u32_e32 v17, 0x333, v72
	v_add_nc_u32_e32 v34, 0x46e, v72
	v_mov_b32_e32 v2, v36
	v_lshlrev_b64 v[5:6], 3, v[5:6]
	v_mov_b32_e32 v41, v32
	v_add_co_u32 v0, vcc_lo, v14, v0
	v_mad_u64_u32 v[32:33], null, s2, v50, 0
	v_add_co_ci_u32_e32 v1, vcc_lo, v49, v1, vcc_lo
	v_add_co_u32 v5, vcc_lo, v14, v5
	v_lshlrev_b64 v[39:40], 3, v[40:41]
	v_add_co_ci_u32_e32 v6, vcc_lo, v49, v6, vcc_lo
	v_mad_u64_u32 v[41:42], null, s3, v73, v[2:3]
	global_store_dwordx2 v[0:1], v[28:29], off
	global_store_dwordx2 v[5:6], v[37:38], off
	v_mov_b32_e32 v0, v33
	v_add_co_u32 v1, vcc_lo, v14, v39
	v_add_co_ci_u32_e32 v2, vcc_lo, v49, v40, vcc_lo
	v_mov_b32_e32 v36, v41
	v_mad_u64_u32 v[5:6], null, s3, v50, v[0:1]
	v_mad_u64_u32 v[6:7], null, s2, v17, 0
	;; [unrolled: 1-line block ×3, first 2 shown]
	global_store_dwordx2 v[1:2], v[30:31], off
	v_lshlrev_b64 v[0:1], 3, v[35:36]
	v_mul_hi_u32 v36, 0xa01a01a1, v71
	v_mov_b32_e32 v33, v5
	v_mov_b32_e32 v2, v7
	v_add_nc_u32_e32 v37, 0x5a9, v72
	v_mov_b32_e32 v5, v29
	v_add_co_u32 v0, vcc_lo, v14, v0
	v_lshlrev_b64 v[30:31], 3, v[32:33]
	v_mad_u64_u32 v[32:33], null, s3, v17, v[2:3]
	v_add_co_ci_u32_e32 v1, vcc_lo, v49, v1, vcc_lo
	v_sub_nc_u32_e32 v2, v71, v36
	v_fmamk_f32 v24, v107, 0x3f737871, v18
	v_mad_u64_u32 v[33:34], null, s3, v34, v[5:6]
	v_mad_u64_u32 v[34:35], null, s2, v37, 0
	global_store_dwordx2 v[0:1], v[26:27], off
	v_lshrrev_b32_e32 v1, 1, v2
	v_mov_b32_e32 v7, v32
	v_fmac_f32_e32 v24, 0x3f167918, v99
	v_add_co_u32 v30, vcc_lo, v14, v30
	v_add_nc_u32_e32 v17, v1, v36
	v_lshlrev_b64 v[1:2], 3, v[6:7]
	v_fmac_f32_e32 v24, 0x3e9e377a, v80
	v_add_co_ci_u32_e32 v31, vcc_lo, v49, v31, vcc_lo
	v_mov_b32_e32 v0, v35
	v_lshrrev_b32_e32 v7, 8, v17
	v_mov_b32_e32 v29, v33
	global_store_dwordx2 v[30:31], v[24:25], off
	v_fmac_f32_e32 v18, 0xbf737871, v107
	v_mad_u64_u32 v[24:25], null, s3, v37, v[0:1]
	v_mad_u32_u24 v17, 0x4ec, v7, v71
	v_lshlrev_b64 v[5:6], 3, v[28:29]
	v_add_co_u32 v0, vcc_lo, v14, v1
	v_add_co_ci_u32_e32 v1, vcc_lo, v49, v2, vcc_lo
	v_mov_b32_e32 v35, v24
	v_mad_u64_u32 v[24:25], null, s2, v17, 0
	v_add_co_u32 v5, vcc_lo, v14, v5
	v_add_co_ci_u32_e32 v6, vcc_lo, v49, v6, vcc_lo
	v_add_nc_u32_e32 v7, 0x13b, v17
	v_add_nc_u32_e32 v28, 0x276, v17
	v_mov_b32_e32 v2, v25
	global_store_dwordx2 v[0:1], v[20:21], off
	global_store_dwordx2 v[5:6], v[22:23], off
	v_mad_u64_u32 v[5:6], null, s2, v7, 0
	v_lshlrev_b64 v[0:1], 3, v[34:35]
	v_mad_u64_u32 v[20:21], null, s2, v28, 0
	v_mad_u64_u32 v[22:23], null, s3, v17, v[2:3]
	v_add_nc_u32_e32 v30, 0x3b1, v17
	v_fmac_f32_e32 v18, 0xbf167918, v99
	v_mad_u64_u32 v[6:7], null, s3, v7, v[6:7]
	v_add_co_u32 v0, vcc_lo, v14, v0
	v_mad_u64_u32 v[26:27], null, s2, v30, 0
	v_add_nc_u32_e32 v7, 0x4ec, v17
	v_fmac_f32_e32 v18, 0x3e9e377a, v80
	v_add_co_ci_u32_e32 v1, vcc_lo, v49, v1, vcc_lo
	v_mov_b32_e32 v2, v21
	v_mov_b32_e32 v25, v22
	v_mad_u64_u32 v[22:23], null, s2, v7, 0
	global_store_dwordx2 v[0:1], v[18:19], off
	v_mad_u64_u32 v[28:29], null, s3, v28, v[2:3]
	v_lshlrev_b64 v[1:2], 3, v[24:25]
	v_mov_b32_e32 v0, v27
	v_lshlrev_b64 v[5:6], 3, v[5:6]
	v_mad_u64_u32 v[17:18], null, s3, v30, v[0:1]
	v_mov_b32_e32 v0, v23
	v_add_co_u32 v1, vcc_lo, v14, v1
	v_mov_b32_e32 v21, v28
	v_add_co_ci_u32_e32 v2, vcc_lo, v49, v2, vcc_lo
	v_mad_u64_u32 v[18:19], null, s3, v7, v[0:1]
	v_lshlrev_b64 v[19:20], 3, v[20:21]
	v_mov_b32_e32 v27, v17
	v_add_co_u32 v5, vcc_lo, v14, v5
	v_add_co_ci_u32_e32 v6, vcc_lo, v49, v6, vcc_lo
	v_mov_b32_e32 v23, v18
	v_lshlrev_b64 v[24:25], 3, v[26:27]
	v_add_co_u32 v17, vcc_lo, v14, v19
	v_add_co_ci_u32_e32 v18, vcc_lo, v49, v20, vcc_lo
	v_lshlrev_b64 v[19:20], 3, v[22:23]
	v_add_co_u32 v21, vcc_lo, v14, v24
	v_add_co_ci_u32_e32 v22, vcc_lo, v49, v25, vcc_lo
	v_add_co_u32 v19, vcc_lo, v14, v19
	v_add_co_ci_u32_e32 v20, vcc_lo, v49, v20, vcc_lo
	global_store_dwordx2 v[1:2], v[3:4], off
	global_store_dwordx2 v[5:6], v[15:16], off
	;; [unrolled: 1-line block ×5, first 2 shown]
.LBB0_37:
	s_endpgm
	.section	.rodata,"a",@progbits
	.p2align	6, 0x0
	.amdhsa_kernel fft_rtc_fwd_len1575_factors_3_3_5_7_5_wgs_63_tpt_63_halfLds_sp_ip_CI_sbrr_dirReg
		.amdhsa_group_segment_fixed_size 0
		.amdhsa_private_segment_fixed_size 0
		.amdhsa_kernarg_size 88
		.amdhsa_user_sgpr_count 6
		.amdhsa_user_sgpr_private_segment_buffer 1
		.amdhsa_user_sgpr_dispatch_ptr 0
		.amdhsa_user_sgpr_queue_ptr 0
		.amdhsa_user_sgpr_kernarg_segment_ptr 1
		.amdhsa_user_sgpr_dispatch_id 0
		.amdhsa_user_sgpr_flat_scratch_init 0
		.amdhsa_user_sgpr_private_segment_size 0
		.amdhsa_wavefront_size32 1
		.amdhsa_uses_dynamic_stack 0
		.amdhsa_system_sgpr_private_segment_wavefront_offset 0
		.amdhsa_system_sgpr_workgroup_id_x 1
		.amdhsa_system_sgpr_workgroup_id_y 0
		.amdhsa_system_sgpr_workgroup_id_z 0
		.amdhsa_system_sgpr_workgroup_info 0
		.amdhsa_system_vgpr_workitem_id 0
		.amdhsa_next_free_vgpr 153
		.amdhsa_next_free_sgpr 23
		.amdhsa_reserve_vcc 1
		.amdhsa_reserve_flat_scratch 0
		.amdhsa_float_round_mode_32 0
		.amdhsa_float_round_mode_16_64 0
		.amdhsa_float_denorm_mode_32 3
		.amdhsa_float_denorm_mode_16_64 3
		.amdhsa_dx10_clamp 1
		.amdhsa_ieee_mode 1
		.amdhsa_fp16_overflow 0
		.amdhsa_workgroup_processor_mode 1
		.amdhsa_memory_ordered 1
		.amdhsa_forward_progress 0
		.amdhsa_shared_vgpr_count 0
		.amdhsa_exception_fp_ieee_invalid_op 0
		.amdhsa_exception_fp_denorm_src 0
		.amdhsa_exception_fp_ieee_div_zero 0
		.amdhsa_exception_fp_ieee_overflow 0
		.amdhsa_exception_fp_ieee_underflow 0
		.amdhsa_exception_fp_ieee_inexact 0
		.amdhsa_exception_int_div_zero 0
	.end_amdhsa_kernel
	.text
.Lfunc_end0:
	.size	fft_rtc_fwd_len1575_factors_3_3_5_7_5_wgs_63_tpt_63_halfLds_sp_ip_CI_sbrr_dirReg, .Lfunc_end0-fft_rtc_fwd_len1575_factors_3_3_5_7_5_wgs_63_tpt_63_halfLds_sp_ip_CI_sbrr_dirReg
                                        ; -- End function
	.section	.AMDGPU.csdata,"",@progbits
; Kernel info:
; codeLenInByte = 17908
; NumSgprs: 25
; NumVgprs: 153
; ScratchSize: 0
; MemoryBound: 0
; FloatMode: 240
; IeeeMode: 1
; LDSByteSize: 0 bytes/workgroup (compile time only)
; SGPRBlocks: 3
; VGPRBlocks: 19
; NumSGPRsForWavesPerEU: 25
; NumVGPRsForWavesPerEU: 153
; Occupancy: 6
; WaveLimiterHint : 1
; COMPUTE_PGM_RSRC2:SCRATCH_EN: 0
; COMPUTE_PGM_RSRC2:USER_SGPR: 6
; COMPUTE_PGM_RSRC2:TRAP_HANDLER: 0
; COMPUTE_PGM_RSRC2:TGID_X_EN: 1
; COMPUTE_PGM_RSRC2:TGID_Y_EN: 0
; COMPUTE_PGM_RSRC2:TGID_Z_EN: 0
; COMPUTE_PGM_RSRC2:TIDIG_COMP_CNT: 0
	.text
	.p2alignl 6, 3214868480
	.fill 48, 4, 3214868480
	.type	__hip_cuid_834794355e8fa4ee,@object ; @__hip_cuid_834794355e8fa4ee
	.section	.bss,"aw",@nobits
	.globl	__hip_cuid_834794355e8fa4ee
__hip_cuid_834794355e8fa4ee:
	.byte	0                               ; 0x0
	.size	__hip_cuid_834794355e8fa4ee, 1

	.ident	"AMD clang version 19.0.0git (https://github.com/RadeonOpenCompute/llvm-project roc-6.4.0 25133 c7fe45cf4b819c5991fe208aaa96edf142730f1d)"
	.section	".note.GNU-stack","",@progbits
	.addrsig
	.addrsig_sym __hip_cuid_834794355e8fa4ee
	.amdgpu_metadata
---
amdhsa.kernels:
  - .args:
      - .actual_access:  read_only
        .address_space:  global
        .offset:         0
        .size:           8
        .value_kind:     global_buffer
      - .offset:         8
        .size:           8
        .value_kind:     by_value
      - .actual_access:  read_only
        .address_space:  global
        .offset:         16
        .size:           8
        .value_kind:     global_buffer
      - .actual_access:  read_only
        .address_space:  global
        .offset:         24
        .size:           8
        .value_kind:     global_buffer
      - .offset:         32
        .size:           8
        .value_kind:     by_value
      - .actual_access:  read_only
        .address_space:  global
        .offset:         40
        .size:           8
        .value_kind:     global_buffer
      - .actual_access:  read_only
        .address_space:  global
        .offset:         48
        .size:           8
        .value_kind:     global_buffer
      - .offset:         56
        .size:           4
        .value_kind:     by_value
      - .actual_access:  read_only
        .address_space:  global
        .offset:         64
        .size:           8
        .value_kind:     global_buffer
      - .actual_access:  read_only
        .address_space:  global
        .offset:         72
        .size:           8
        .value_kind:     global_buffer
      - .address_space:  global
        .offset:         80
        .size:           8
        .value_kind:     global_buffer
    .group_segment_fixed_size: 0
    .kernarg_segment_align: 8
    .kernarg_segment_size: 88
    .language:       OpenCL C
    .language_version:
      - 2
      - 0
    .max_flat_workgroup_size: 63
    .name:           fft_rtc_fwd_len1575_factors_3_3_5_7_5_wgs_63_tpt_63_halfLds_sp_ip_CI_sbrr_dirReg
    .private_segment_fixed_size: 0
    .sgpr_count:     25
    .sgpr_spill_count: 0
    .symbol:         fft_rtc_fwd_len1575_factors_3_3_5_7_5_wgs_63_tpt_63_halfLds_sp_ip_CI_sbrr_dirReg.kd
    .uniform_work_group_size: 1
    .uses_dynamic_stack: false
    .vgpr_count:     153
    .vgpr_spill_count: 0
    .wavefront_size: 32
    .workgroup_processor_mode: 1
amdhsa.target:   amdgcn-amd-amdhsa--gfx1030
amdhsa.version:
  - 1
  - 2
...

	.end_amdgpu_metadata
